;; amdgpu-corpus repo=ROCm/aiter kind=harvested arch=n/a opt=n/a

/root/src/amdgpu-assembly/repos/ROCm__aiter/hsa/gfx942/fmoe_int4fp8_g1u1_subGU_128_gelu.co:	file format elf64-amdgpu

Disassembly of section .text:

0000000000002b00 <fmoe_int4fp8_g1u1_subGU_128_gelu>:
	s_and_b32 s1, s1, 0xffff                                   // 000000002B00: 8601FF01 0000FFFF
	s_load_dwordx2 s[8:9], s[0:1], 0x0                         // 000000002B08: C0060200 00000000
	s_load_dwordx2 s[20:21], s[0:1], 0x10                      // 000000002B10: C0060500 00000010
	s_load_dwordx2 s[24:25], s[0:1], 0x20                      // 000000002B18: C0060600 00000020
	s_load_dwordx2 s[50:51], s[0:1], 0x30                      // 000000002B20: C0060C80 00000030
	s_load_dwordx2 s[12:13], s[0:1], 0x40                      // 000000002B28: C0060300 00000040
	s_load_dwordx2 s[28:29], s[0:1], 0x50                      // 000000002B30: C0060700 00000050
	s_load_dwordx2 s[32:33], s[0:1], 0x60                      // 000000002B38: C0060800 00000060
	s_load_dwordx2 s[16:17], s[0:1], 0x70                      // 000000002B40: C0060400 00000070
	s_load_dwordx2 s[36:37], s[0:1], 0x80                      // 000000002B48: C0060900 00000080
	s_load_dwordx2 s[44:45], s[0:1], 0x90                      // 000000002B50: C0060B00 00000090
	s_load_dwordx2 s[40:41], s[0:1], 0xa0                      // 000000002B58: C0060A00 000000A0
	s_load_dwordx2 s[46:47], s[0:1], 0xb0                      // 000000002B60: C0060B80 000000B0
	s_load_dword s64, s[0:1], 0xc0                             // 000000002B68: C0021000 000000C0
	s_load_dword s65, s[0:1], 0xd0                             // 000000002B70: C0021040 000000D0
	s_load_dword s66, s[0:1], 0xe0                             // 000000002B78: C0021080 000000E0
	s_load_dword s67, s[0:1], 0xf0                             // 000000002B80: C00210C0 000000F0
	s_load_dword s68, s[0:1], 0x100                            // 000000002B88: C0021100 00000100
	s_load_dword s69, s[0:1], 0x110                            // 000000002B90: C0021140 00000110
	s_load_dword s70, s[0:1], 0x120                            // 000000002B98: C0021180 00000120
	s_load_dword s71, s[0:1], 0x130                            // 000000002BA0: C00211C0 00000130
	s_load_dword s72, s[0:1], 0x140                            // 000000002BA8: C0021200 00000140
	s_load_dword s73, s[0:1], 0x150                            // 000000002BB0: C0021240 00000150
	s_load_dword s74, s[0:1], 0x160                            // 000000002BB8: C0021280 00000160
	s_load_dword s75, s[0:1], 0x170                            // 000000002BC0: C00212C0 00000170
	s_load_dword s76, s[0:1], 0x180                            // 000000002BC8: C0021300 00000180
	v_lshrrev_b32_e32 v1, 10, v0                               // 000000002BD0: 2002008A
	v_lshrrev_b32_e32 v2, 10, v1                               // 000000002BD4: 2004028A
	v_and_b32_e32 v2, 0x3ff, v2                                // 000000002BD8: 260404FF 000003FF
	v_and_b32_e32 v1, 0x3ff, v1                                // 000000002BE0: 260202FF 000003FF
	v_and_b32_e32 v0, 0x3ff, v0                                // 000000002BE8: 260000FF 000003FF
	v_lshrrev_b32_e32 v3, 6, v0                                // 000000002BF0: 20060086
	v_and_b32_e32 v0, 63, v0                                   // 000000002BF4: 260000BF
	s_mov_b32 s2, s2                                           // 000000002BF8: BE820002
	s_mov_b32 s3, s3                                           // 000000002BFC: BE830003
	s_mov_b32 s4, s4                                           // 000000002C00: BE840004
	v_readfirstlane_b32 s7, v3                                 // 000000002C04: 7E0E0503
	s_waitcnt lgkmcnt(0)                                       // 000000002C08: BF8CC07F
	s_and_b32 s51, s51, 0xffff                                 // 000000002C0C: 8633FF33 0000FFFF
	s_load_dword s50, s[50:51], 0x0                            // 000000002C14: C0020C99 00000000
	s_and_b32 s45, s45, 0xffff                                 // 000000002C1C: 862DFF2D 0000FFFF
	s_and_b32 s47, s47, 0xffff                                 // 000000002C24: 862FFF2F 0000FFFF
	s_and_b32 s9, s9, 0xffff                                   // 000000002C2C: 8609FF09 0000FFFF
	s_mul_i32 s60, s66, s68                                    // 000000002C34: 923C4442
	s_mul_i32 s61, s66, 4                                      // 000000002C38: 923D8442
	s_mov_b32 s22, s60                                         // 000000002C3C: BE96003C
	s_mov_b32 s26, 0x80000000                                  // 000000002C40: BE9A00FF 80000000
	s_mov_b32 s14, 0x80000000                                  // 000000002C48: BE8E00FF 80000000
	s_mov_b32 s42, 0x80000000                                  // 000000002C50: BEAA00FF 80000000
	s_mov_b32 s30, s61                                         // 000000002C58: BE9E003D
	s_mov_b32 s34, 0x200                                       // 000000002C5C: BEA200FF 00000200
	s_mov_b32 s38, 0x200                                       // 000000002C64: BEA600FF 00000200
	s_mov_b32 s18, 0x80000000                                  // 000000002C6C: BE9200FF 80000000
	s_mov_b32 s23, 0x20000                                     // 000000002C74: BE9700FF 00020000
	s_mov_b32 s27, 0x20000                                     // 000000002C7C: BE9B00FF 00020000
	s_mov_b32 s15, 0x20000                                     // 000000002C84: BE8F00FF 00020000
	s_mov_b32 s43, 0x20000                                     // 000000002C8C: BEAB00FF 00020000
	s_mov_b32 s31, 0x20000                                     // 000000002C94: BE9F00FF 00020000
	s_mov_b32 s35, 0x20000                                     // 000000002C9C: BEA300FF 00020000
	s_mov_b32 s39, 0x20000                                     // 000000002CA4: BEA700FF 00020000
	s_mov_b32 s19, 0x20000                                     // 000000002CAC: BE9300FF 00020000
	s_and_b32 s21, s21, 0xffff                                 // 000000002CB4: 8615FF15 0000FFFF
	s_and_b32 s25, s25, 0xffff                                 // 000000002CBC: 8619FF19 0000FFFF
	s_and_b32 s13, s13, 0xffff                                 // 000000002CC4: 860DFF0D 0000FFFF
	s_and_b32 s41, s41, 0xffff                                 // 000000002CCC: 8629FF29 0000FFFF
	s_and_b32 s29, s29, 0xffff                                 // 000000002CD4: 861DFF1D 0000FFFF
	s_and_b32 s33, s33, 0xffff                                 // 000000002CDC: 8621FF21 0000FFFF
	s_and_b32 s37, s37, 0xffff                                 // 000000002CE4: 8625FF25 0000FFFF
	s_and_b32 s17, s17, 0xffff                                 // 000000002CEC: 8611FF11 0000FFFF
	s_or_b32 s21, s21, 0x40000                                 // 000000002CF4: 8715FF15 00040000
	s_or_b32 s25, s25, 0x40000                                 // 000000002CFC: 8719FF19 00040000
	s_or_b32 s13, s13, 0x40000                                 // 000000002D04: 870DFF0D 00040000
	s_or_b32 s41, s41, 0x40000                                 // 000000002D0C: 8729FF29 00040000
	s_or_b32 s29, s29, 0x40000                                 // 000000002D14: 871DFF1D 00040000
	s_or_b32 s33, s33, 0x40000                                 // 000000002D1C: 8721FF21 00040000
	s_or_b32 s37, s37, 0x40000                                 // 000000002D24: 8725FF25 00040000
	s_or_b32 s17, s17, 0x40000                                 // 000000002D2C: 8711FF11 00040000
	v_accvgpr_write_b32 a63, 0                                 // 000000002D34: D3D9403F 18000080
	v_mov_b32_e32 v207, 0                                      // 000000002D3C: 7F9E0280
	s_waitcnt lgkmcnt(0)                                       // 000000002D40: BF8CC07F
	s_mul_i32 s60, s3, 32                                      // 000000002D44: 923CA003
	s_cmp_lt_i32 s60, s50                                      // 000000002D48: BF04323C
	s_cbranch_scc0 label_1631                                  // 000000002D4C: BF84159D
	s_mov_b32 s80, 0                                           // 000000002D50: BED00080
	s_mov_b32 s81, s64                                         // 000000002D54: BED10040
	s_mul_i32 s60, s3, 4                                       // 000000002D58: 923C8403
	s_add_u32 s46, s60, s46                                    // 000000002D5C: 802E2E3C
	s_addc_u32 s47, 0, s47                                     // 000000002D60: 822F2F80
	s_load_dword s5, s[46:47], 0x0                             // 000000002D64: C0020157 00000000
	s_mul_i32 s60, s3, 32                                      // 000000002D6C: 923CA003
	s_mul_i32 s60, 4, s60                                      // 000000002D70: 923C3C84
	v_and_b32_e32 v44, 15, v0                                  // 000000002D74: 2658008F
	v_lshlrev_b32_e32 v44, 2, v44                              // 000000002D78: 24585882
	v_add_u32_e32 v44, s60, v44                                // 000000002D7C: 6858583C
	v_mov_b32_e32 v45, 0                                       // 000000002D80: 7E5A0280
	global_load_dword v6, v44, s[44:45]                        // 000000002D84: DC508000 062C002C
	v_add_u32_e32 v44, 64, v44                                 // 000000002D8C: 685858C0
	global_load_dword v7, v44, s[44:45]                        // 000000002D90: DC508000 072C002C
	s_mul_i32 s60, s3, 32                                      // 000000002D98: 923CA003
	s_add_u32 s60, s7, s60                                     // 000000002D9C: 803C3C07
	s_mul_i32 s60, 4, s60                                      // 000000002DA0: 923C3C84
	s_add_u32 s44, s60, s44                                    // 000000002DA4: 802C2C3C
	s_addc_u32 s45, 0, s45                                     // 000000002DA8: 822D2D80
	s_load_dword s82, s[44:45], 0x0                            // 000000002DAC: C0021496 00000000
	s_load_dword s83, s[44:45], 0x10                           // 000000002DB4: C00214D6 00000010
	s_load_dword s84, s[44:45], 0x20                           // 000000002DBC: C0021516 00000020
	s_load_dword s85, s[44:45], 0x30                           // 000000002DC4: C0021556 00000030
	s_load_dword s86, s[44:45], 0x40                           // 000000002DCC: C0021596 00000040
	s_load_dword s87, s[44:45], 0x50                           // 000000002DD4: C00215D6 00000050
	s_load_dword s88, s[44:45], 0x60                           // 000000002DDC: C0021616 00000060
	s_load_dword s89, s[44:45], 0x70                           // 000000002DE4: C0021656 00000070
	s_waitcnt lgkmcnt(0)                                       // 000000002DEC: BF8CC07F
	v_lshlrev_b32_e32 v44, 2, v0                               // 000000002DF0: 24580082
	s_and_b32 s82, s82, 0xffffff                               // 000000002DF4: 8652FF52 00FFFFFF
	s_mul_i32 s60, s82, s68                                    // 000000002DFC: 923C4452
	v_add_u32_e64 v24, v44, s60                                // 000000002E00: D1340018 0000792C
	s_and_b32 s83, s83, 0xffffff                               // 000000002E08: 8653FF53 00FFFFFF
	s_mul_i32 s60, s83, s68                                    // 000000002E10: 923C4453
	v_add_u32_e64 v25, v44, s60                                // 000000002E14: D1340019 0000792C
	s_and_b32 s84, s84, 0xffffff                               // 000000002E1C: 8654FF54 00FFFFFF
	s_mul_i32 s60, s84, s68                                    // 000000002E24: 923C4454
	v_add_u32_e64 v26, v44, s60                                // 000000002E28: D134001A 0000792C
	s_and_b32 s85, s85, 0xffffff                               // 000000002E30: 8655FF55 00FFFFFF
	s_mul_i32 s60, s85, s68                                    // 000000002E38: 923C4455
	v_add_u32_e64 v27, v44, s60                                // 000000002E3C: D134001B 0000792C
	s_and_b32 s86, s86, 0xffffff                               // 000000002E44: 8656FF56 00FFFFFF
	s_mul_i32 s60, s86, s68                                    // 000000002E4C: 923C4456
	v_add_u32_e64 v28, v44, s60                                // 000000002E50: D134001C 0000792C
	s_and_b32 s87, s87, 0xffffff                               // 000000002E58: 8657FF57 00FFFFFF
	s_mul_i32 s60, s87, s68                                    // 000000002E60: 923C4457
	v_add_u32_e64 v29, v44, s60                                // 000000002E64: D134001D 0000792C
	s_and_b32 s88, s88, 0xffffff                               // 000000002E6C: 8658FF58 00FFFFFF
	s_mul_i32 s60, s88, s68                                    // 000000002E74: 923C4458
	v_add_u32_e64 v30, v44, s60                                // 000000002E78: D134001E 0000792C
	s_and_b32 s89, s89, 0xffffff                               // 000000002E80: 8659FF59 00FFFFFF
	s_mul_i32 s60, s89, s68                                    // 000000002E88: 923C4459
	v_add_u32_e64 v31, v44, s60                                // 000000002E8C: D134001F 0000792C
	v_lshlrev_b32_e32 v44, 2, v0                               // 000000002E94: 24580082
	s_mul_i32 s60, s82, s71                                    // 000000002E98: 923C4752
	v_add_u32_e64 v80, v44, s60                                // 000000002E9C: D1340050 0000792C
	v_mov_b32_e32 v81, 0                                       // 000000002EA4: 7EA20280
	s_mul_i32 s60, s83, s71                                    // 000000002EA8: 923C4753
	v_add_u32_e64 v82, v44, s60                                // 000000002EAC: D1340052 0000792C
	v_mov_b32_e32 v83, 0                                       // 000000002EB4: 7EA60280
	s_mul_i32 s60, s84, s71                                    // 000000002EB8: 923C4754
	v_add_u32_e64 v84, v44, s60                                // 000000002EBC: D1340054 0000792C
	v_mov_b32_e32 v85, 0                                       // 000000002EC4: 7EAA0280
	s_mul_i32 s60, s85, s71                                    // 000000002EC8: 923C4755
	v_add_u32_e64 v86, v44, s60                                // 000000002ECC: D1340056 0000792C
	v_mov_b32_e32 v87, 0                                       // 000000002ED4: 7EAE0280
	s_mul_i32 s60, s86, s71                                    // 000000002ED8: 923C4756
	v_add_u32_e64 v88, v44, s60                                // 000000002EDC: D1340058 0000792C
	v_mov_b32_e32 v89, 0                                       // 000000002EE4: 7EB20280
	s_mul_i32 s60, s87, s71                                    // 000000002EE8: 923C4757
	v_add_u32_e64 v90, v44, s60                                // 000000002EEC: D134005A 0000792C
	v_mov_b32_e32 v91, 0                                       // 000000002EF4: 7EB60280
	s_mul_i32 s60, s88, s71                                    // 000000002EF8: 923C4758
	v_add_u32_e64 v92, v44, s60                                // 000000002EFC: D134005C 0000792C
	v_mov_b32_e32 v93, 0                                       // 000000002F04: 7EBA0280
	s_mul_i32 s60, s89, s71                                    // 000000002F08: 923C4759
	v_add_u32_e64 v94, v44, s60                                // 000000002F0C: D134005E 0000792C
	v_mov_b32_e32 v95, 0                                       // 000000002F14: 7EBE0280
	s_mul_i32 s60, s7, 0x820                                   // 000000002F18: 923CFF07 00000820
	s_add_u32 s50, 0, s60                                      // 000000002F20: 80323C80
	s_add_u32 s51, 0x2080, s50                                 // 000000002F24: 803332FF 00002080
	v_lshrrev_b32_e32 v44, 4, v0                               // 000000002F2C: 20580084
	v_lshlrev_b32_e32 v45, 3, v44                              // 000000002F30: 245A5883
	v_and_b32_e32 v44, 15, v0                                  // 000000002F34: 2658008F
	v_lshrrev_b32_e32 v46, 2, v44                              // 000000002F38: 205C5882
	v_lshlrev_b32_e32 v46, 6, v46                              // 000000002F3C: 245C5C86
	v_add_u32_e32 v45, v46, v45                                // 000000002F40: 685A5B2E
	v_and_b32_e32 v44, 3, v0                                   // 000000002F44: 26580083
	v_mul_i32_i24_e32 v46, 0x208, v44                          // 000000002F48: 0C5C58FF 00000208
	v_add_u32_e32 v45, v46, v45                                // 000000002F50: 685A5B2E
	v_lshlrev_b32_e32 v2, 2, v45                               // 000000002F54: 24045A82
	s_mul_i32 s60, s2, 0x80                                    // 000000002F58: 923CFF02 00000080
	s_mul_i32 s60, s60, s69                                    // 000000002F60: 923C453C
	s_mul_i32 s61, s5, s72                                     // 000000002F64: 923D4805
	s_add_u32 s60, s61, s60                                    // 000000002F68: 803C3C3D
	s_add_u32 s24, s60, s24                                    // 000000002F6C: 8018183C
	s_addc_u32 s25, 0, s25                                     // 000000002F70: 82191980
	s_mul_i32 s60, s7, 16                                      // 000000002F74: 923C9007
	s_mul_i32 s60, s60, s69                                    // 000000002F78: 923C453C
	v_lshlrev_b32_e32 v32, 4, v0                               // 000000002F7C: 24400084
	v_add_u32_e32 v32, s60, v32                                // 000000002F80: 6840403C
	s_mul_i32 s60, 64, s69                                     // 000000002F84: 923C45C0
	v_add_u32_e32 v33, s60, v32                                // 000000002F88: 6842403C
	s_mov_b32 s92, s24                                         // 000000002F8C: BEDC0018
	s_mov_b32 s93, s25                                         // 000000002F90: BEDD0019
	s_mov_b32 s94, s26                                         // 000000002F94: BEDE001A
	s_mov_b32 s95, s27                                         // 000000002F98: BEDF001B
	s_mul_i32 s60, s69, s65                                    // 000000002F9C: 923C4145
	s_add_u32 s92, s60, s92                                    // 000000002FA0: 805C5C3C
	s_addc_u32 s93, 0, s93                                     // 000000002FA4: 825D5D80
	s_mul_i32 s60, s2, 0x400                                   // 000000002FA8: 923CFF02 00000400
	s_mul_i32 s61, s5, s73                                     // 000000002FB0: 923D4905
	s_add_u32 s60, s61, s60                                    // 000000002FB4: 803C3C3D
	s_add_u32 s12, s60, s12                                    // 000000002FB8: 800C0C3C
	s_addc_u32 s13, 0, s13                                     // 000000002FBC: 820D0D80
	s_mul_i32 s60, s7, 16                                      // 000000002FC0: 923C9007
	s_mul_i32 s60, s60, s70                                    // 000000002FC4: 923C463C
	v_lshlrev_b32_e32 v34, 4, v0                               // 000000002FC8: 24440084
	v_add_u32_e32 v34, s60, v34                                // 000000002FCC: 6844443C
	s_mul_i32 s60, 64, s70                                     // 000000002FD0: 923C46C0
	v_add_u32_e32 v35, s60, v34                                // 000000002FD4: 6846443C
	v_add_u32_e32 v36, s60, v35                                // 000000002FD8: 6848463C
	v_add_u32_e32 v37, s60, v36                                // 000000002FDC: 684A483C
	s_mul_i32 s60, s70, 0x100                                  // 000000002FE0: 923CFF46 00000100
	s_mov_b32 s78, 0x400                                       // 000000002FE8: BECE00FF 00000400
	s_mul_i32 s61, s78, 0                                      // 000000002FF0: 923D804E
	s_sub_u32 s56, s60, s61                                    // 000000002FF4: 80B83D3C
	s_mul_i32 s60, s3, 32                                      // 000000002FF8: 923CA003
	s_mul_i32 s60, 4, s60                                      // 000000002FFC: 923C3C84
	s_add_u32 s40, s60, s40                                    // 000000003000: 8028283C
	s_addc_u32 s41, 0, s41                                     // 000000003004: 82292980
	v_and_b32_e32 v44, 15, v0                                  // 000000003008: 2658008F
	v_lshlrev_b32_e32 v8, 2, v44                               // 00000000300C: 24105882
	v_add_u32_e32 v9, 64, v8                                   // 000000003010: 681210C0
	v_lshrrev_b32_e32 v44, 4, v0                               // 000000003014: 20580084
	v_lshlrev_b32_e32 v45, 2, v44                              // 000000003018: 245A5882
	v_and_b32_e32 v44, 15, v0                                  // 00000000301C: 2658008F
	v_lshrrev_b32_e32 v46, 2, v44                              // 000000003020: 205C5882
	v_lshlrev_b32_e32 v46, 6, v46                              // 000000003024: 245C5C86
	v_add_u32_e32 v45, v46, v45                                // 000000003028: 685A5B2E
	v_and_b32_e32 v44, 3, v0                                   // 00000000302C: 26580083
	v_add_u32_e32 v45, v44, v45                                // 000000003030: 685A5B2C
	v_lshlrev_b32_e32 v10, 2, v45                              // 000000003034: 24145A82
	v_add_u32_e32 v11, 0x400, v10                              // 000000003038: 681614FF 00000400
	s_mul_i32 s60, s7, 16                                      // 000000003040: 923C9007
	s_mul_i32 s60, s60, 4                                      // 000000003044: 923C843C
	v_add_u32_e32 v10, s60, v10                                // 000000003048: 6814143C
	v_add_u32_e32 v11, s60, v11                                // 00000000304C: 6816163C
	v_mov_b32_e32 v5, v10                                      // 000000003050: 7E0A030A
	s_mul_i32 s60, s2, 0x80                                    // 000000003054: 923CFF02 00000080
	s_mul_i32 s60, s60, 4                                      // 00000000305C: 923C843C
	s_mul_i32 s61, s5, s74                                     // 000000003060: 923D4A05
	s_add_u32 s61, s61, s60                                    // 000000003064: 803D3C3D
	s_mul_i32 s62, s5, s76                                     // 000000003068: 923E4C05
	s_add_u32 s62, s62, s60                                    // 00000000306C: 803E3C3E
	s_add_u32 s32, s61, s32                                    // 000000003070: 8020203D
	s_addc_u32 s33, 0, s33                                     // 000000003074: 82212180
	s_add_u32 s36, s62, s36                                    // 000000003078: 8024243E
	s_addc_u32 s37, 0, s37                                     // 00000000307C: 82252580
	s_mul_i32 s60, s5, s75                                     // 000000003080: 923C4B05
	s_add_u32 s16, s60, s16                                    // 000000003084: 8010103C
	s_addc_u32 s17, 0, s17                                     // 000000003088: 82111180
	s_mov_b32 s57, 0x100                                       // 00000000308C: BEB900FF 00000100
	s_mov_b32 s58, 0x800                                       // 000000003094: BEBA00FF 00000800
	s_mov_b32 s79, 0x400                                       // 00000000309C: BECF00FF 00000400
	s_mov_b32 s59, 0x200                                       // 0000000030A4: BEBB00FF 00000200
	s_mov_b32 s90, s58                                         // 0000000030AC: BEDA003A
	s_mov_b32 s52, 0x7060302                                   // 0000000030B0: BEB400FF 07060302
	s_mov_b32 s53, 0x400                                       // 0000000030B8: BEB500FF 00000400
	s_mov_b32 s54, 0x40100                                     // 0000000030C0: BEB600FF 00040100
	s_mov_b32 s55, 0x4020100                                   // 0000000030C8: BEB700FF 04020100
	s_mov_b32 s6, 0x3fb8aa3b                                   // 0000000030D0: BE8600FF 3FB8AA3B
	s_mov_b32 s77, 0xbd92220c                                  // 0000000030D8: BECD00FF BD92220C
	s_mov_b32 m0, s50                                          // 0000000030E0: BEFC0032
	v_mov_b32_e32 v1, 0xbfcc4231                               // 0000000030E4: 7E0202FF BFCC4231
	v_mov_b32_e32 v39, 0xffff0000                              // 0000000030EC: 7E4E02FF FFFF0000
	v_mov_b32_e32 v40, 0x7fff0000                              // 0000000030F4: 7E5002FF 7FFF0000
	v_mov_b32_e32 v41, 0x7fff                                  // 0000000030FC: 7E5202FF 00007FFF
	s_waitcnt vmcnt(0) expcnt(0) lgkmcnt(0)                    // 000000003104: BF8C0000
	v_and_b32_e32 v6, 0xffffff, v6                             // 000000003108: 260C0CFF 00FFFFFF
	v_and_b32_e32 v7, 0xffffff, v7                             // 000000003110: 260E0EFF 00FFFFFF
	v_lshlrev_b32_e32 v6, 2, v6                                // 000000003118: 240C0C82
	v_lshlrev_b32_e32 v7, 2, v7                                // 00000000311C: 240E0E82
	buffer_load_dword v13, v6, s[28:31], 0 offen               // 000000003120: E0501000 80070D06
	buffer_load_dword v14, v7, s[28:31], 0 offen               // 000000003128: E0501000 80070E07
	buffer_load_dword v15, v10, s[32:35], 0 offen              // 000000003130: E0501000 80080F0A
	buffer_load_dword v16, v11, s[32:35], 0 offen              // 000000003138: E0501000 8008100B
	s_mul_i32 s60, 4, s65                                      // 000000003140: 923C4184
	s_add_u32 s32, s60, s32                                    // 000000003144: 8020203C
	s_addc_u32 s33, 0, s33                                     // 000000003148: 82212180
	buffer_load_dword v42, v10, s[32:35], 0 offen              // 00000000314C: E0501000 80082A0A
	buffer_load_dword v43, v11, s[32:35], 0 offen              // 000000003154: E0501000 80082B0B
	buffer_load_dword v16, v10, s[36:39], 0 offen              // 00000000315C: E0501000 8009100A
	buffer_load_dword v17, v11, s[36:39], 0 offen              // 000000003164: E0501000 8009110B
	buffer_load_dword v17, v8, s[40:43], 0 offen               // 00000000316C: E0501000 800A1108
	buffer_load_dword v18, v9, s[40:43], 0 offen               // 000000003174: E0501000 800A1209
	buffer_load_dword v24, s[20:23], 0 offen lds               // 00000000317C: E0511000 80050018
	s_add_u32 m0, 0x100, s50                                   // 000000003184: 807C32FF 00000100
	buffer_load_dword v25, s[20:23], 0 offen lds               // 00000000318C: E0511000 80050019
	s_add_u32 m0, 0x200, s50                                   // 000000003194: 807C32FF 00000200
	buffer_load_dword v26, s[20:23], 0 offen lds               // 00000000319C: E0511000 8005001A
	s_add_u32 m0, 0x300, s50                                   // 0000000031A4: 807C32FF 00000300
	buffer_load_dword v27, s[20:23], 0 offen lds               // 0000000031AC: E0511000 8005001B
	s_add_u32 m0, 0x400, s50                                   // 0000000031B4: 807C32FF 00000400
	buffer_load_dword v28, s[20:23], 0 offen lds               // 0000000031BC: E0511000 8005001C
	s_add_u32 m0, 0x500, s50                                   // 0000000031C4: 807C32FF 00000500
	buffer_load_dword v29, s[20:23], 0 offen lds               // 0000000031CC: E0511000 8005001D
	s_add_u32 m0, 0x600, s50                                   // 0000000031D4: 807C32FF 00000600
	buffer_load_dword v30, s[20:23], 0 offen lds               // 0000000031DC: E0511000 8005001E
	s_add_u32 m0, 0x700, s50                                   // 0000000031E4: 807C32FF 00000700
	buffer_load_dword v31, s[20:23], 0 offen lds               // 0000000031EC: E0511000 8005001F
	s_add_u32 m0, 0, s51                                       // 0000000031F4: 807C3380
	s_add_u32 s20, s57, s20                                    // 0000000031F8: 80141439
	s_addc_u32 s21, 0, s21                                     // 0000000031FC: 82151580
	buffer_load_dwordx4 a[16:19], v32, s[24:27], 0 offen       // 000000003200: E05C1000 80861020
	buffer_load_dwordx4 a[20:23], v32, s[24:27], 0 offen offset:1024// 000000003208: E05C1400 80861420
	buffer_load_dwordx4 a[24:27], v33, s[24:27], 0 offen       // 000000003210: E05C1000 80861821
	buffer_load_dwordx4 a[28:31], v33, s[24:27], 0 offen offset:1024// 000000003218: E05C1400 80861C21
	s_add_u32 s24, s58, s24                                    // 000000003220: 8018183A
	s_addc_u32 s25, 0, s25                                     // 000000003224: 82191980
	v_mov_b32_e32 v128, 0                                      // 000000003228: 7F000280
	v_mov_b32_e32 v64, 0                                       // 00000000322C: 7E800280
	v_mov_b32_e32 v129, 0                                      // 000000003230: 7F020280
	v_mov_b32_e32 v65, 0                                       // 000000003234: 7E820280
	v_mov_b32_e32 v130, 0                                      // 000000003238: 7F040280
	v_mov_b32_e32 v66, 0                                       // 00000000323C: 7E840280
	v_mov_b32_e32 v131, 0                                      // 000000003240: 7F060280
	v_mov_b32_e32 v67, 0                                       // 000000003244: 7E860280
	v_mov_b32_e32 v132, 0                                      // 000000003248: 7F080280
	v_mov_b32_e32 v68, 0                                       // 00000000324C: 7E880280
	v_mov_b32_e32 v133, 0                                      // 000000003250: 7F0A0280
	v_mov_b32_e32 v69, 0                                       // 000000003254: 7E8A0280
	v_mov_b32_e32 v134, 0                                      // 000000003258: 7F0C0280
	v_mov_b32_e32 v70, 0                                       // 00000000325C: 7E8C0280
	v_mov_b32_e32 v135, 0                                      // 000000003260: 7F0E0280
	v_mov_b32_e32 v71, 0                                       // 000000003264: 7E8E0280
	v_mov_b32_e32 v136, 0                                      // 000000003268: 7F100280
	v_mov_b32_e32 v72, 0                                       // 00000000326C: 7E900280
	v_mov_b32_e32 v137, 0                                      // 000000003270: 7F120280
	v_mov_b32_e32 v73, 0                                       // 000000003274: 7E920280
	v_mov_b32_e32 v138, 0                                      // 000000003278: 7F140280
	v_mov_b32_e32 v74, 0                                       // 00000000327C: 7E940280
	v_mov_b32_e32 v139, 0                                      // 000000003280: 7F160280
	v_mov_b32_e32 v75, 0                                       // 000000003284: 7E960280
	v_mov_b32_e32 v140, 0                                      // 000000003288: 7F180280
	v_mov_b32_e32 v76, 0                                       // 00000000328C: 7E980280
	v_mov_b32_e32 v141, 0                                      // 000000003290: 7F1A0280
	v_mov_b32_e32 v77, 0                                       // 000000003294: 7E9A0280
	v_mov_b32_e32 v142, 0                                      // 000000003298: 7F1C0280
	v_mov_b32_e32 v78, 0                                       // 00000000329C: 7E9C0280
	v_mov_b32_e32 v143, 0                                      // 0000000032A0: 7F1E0280
	v_mov_b32_e32 v79, 0                                       // 0000000032A4: 7E9E0280
	v_lshrrev_b32_e32 v44, 4, v0                               // 0000000032A8: 20580084
	v_mul_i32_i24_e32 v3, 34, v44                              // 0000000032AC: 0C0658A2
	v_and_b32_e32 v44, 15, v0                                  // 0000000032B0: 2658008F
	v_mul_i32_i24_e32 v45, 2, v44                              // 0000000032B4: 0C5A5882
	v_add_u32_e32 v3, v45, v3                                  // 0000000032B8: 6806072D
	s_mul_i32 s60, s7, 0x88                                    // 0000000032BC: 923CFF07 00000088
	v_add_u32_e32 v3, s60, v3                                  // 0000000032C4: 6806063C
	v_lshlrev_b32_e32 v3, 2, v3                                // 0000000032C8: 24060682
	v_lshrrev_b32_e32 v44, 1, v0                               // 0000000032CC: 20580081
	v_mul_i32_i24_e32 v4, 34, v44                              // 0000000032D0: 0C0858A2
	v_and_b32_e32 v45, 1, v0                                   // 0000000032D4: 265A0081
	v_add_u32_e32 v4, v45, v4                                  // 0000000032D8: 6808092D
	s_mul_i32 s60, s7, 2                                       // 0000000032DC: 923C8207
	v_add_u32_e32 v4, s60, v4                                  // 0000000032E0: 6808083C
	v_lshlrev_b32_e32 v4, 2, v4                                // 0000000032E4: 24080882
	s_waitcnt vmcnt(4)                                         // 0000000032E8: BF8C0F74
	s_barrier                                                  // 0000000032EC: BF8A0000
	ds_read_b128 v[144:147], v2                                // 0000000032F0: D9FE0000 90000002
	ds_read_b128 v[148:151], v2 offset:16                      // 0000000032F8: D9FE0010 94000002
	ds_read_b128 v[152:155], v2 offset:128                     // 000000003300: D9FE0080 98000002
	ds_read_b128 v[156:159], v2 offset:144                     // 000000003308: D9FE0090 9C000002
	ds_read_b128 v[160:163], v2 offset:1024                    // 000000003310: D9FE0400 A0000002
	ds_read_b128 v[164:167], v2 offset:1040                    // 000000003318: D9FE0410 A4000002
	ds_read_b128 v[168:171], v2 offset:1152                    // 000000003320: D9FE0480 A8000002
	ds_read_b128 v[172:175], v2 offset:1168                    // 000000003328: D9FE0490 AC000002

0000000000003330 <label_020C>:
	s_waitcnt vmcnt(0) lgkmcnt(0)                              // 000000003330: BF8C0070
	s_barrier                                                  // 000000003334: BF8A0000
	v_accvgpr_read_b32 v44, a16                                // 000000003338: D3D8402C 18000110
	v_cvt_off_f32_i4_e32 v45, v44                              // 000000003340: 7E5A1D2C
	v_cvt_off_f32_i4_sdwa v46, v44 dst_sel:DWORD dst_unused:UNUSED_PRESERVE src0_sel:BYTE_2// 000000003344: 7E5C1CF9 0002162C
	v_cvt_pk_fp8_f32 v48, v45, v46                             // 00000000334C: D2A20030 00025D2D
	v_cvt_off_f32_i4_sdwa v45, v44 dst_sel:DWORD dst_unused:UNUSED_PRESERVE src0_sel:BYTE_1// 000000003354: 7E5A1CF9 0001162C
	v_cvt_off_f32_i4_sdwa v46, v44 dst_sel:DWORD dst_unused:UNUSED_PRESERVE src0_sel:BYTE_3// 00000000335C: 7E5C1CF9 0003162C
	v_cvt_pk_fp8_f32 v49, v45, v46                             // 000000003364: D2A20031 00025D2D
	v_lshrrev_b32_e32 v47, 4, v44                              // 00000000336C: 205E5884
	v_cvt_off_f32_i4_e32 v45, v47                              // 000000003370: 7E5A1D2F
	v_cvt_off_f32_i4_sdwa v46, v47 dst_sel:DWORD dst_unused:UNUSED_PRESERVE src0_sel:BYTE_2// 000000003374: 7E5C1CF9 0002162F
	v_cvt_pk_fp8_f32 v48, v45, v46 op_sel:[0,0,1]              // 00000000337C: D2A24030 00025D2D
	v_cvt_off_f32_i4_sdwa v45, v47 dst_sel:DWORD dst_unused:UNUSED_PRESERVE src0_sel:BYTE_1// 000000003384: 7E5A1CF9 0001162F
	v_cvt_off_f32_i4_sdwa v46, v47 dst_sel:DWORD dst_unused:UNUSED_PRESERVE src0_sel:BYTE_3// 00000000338C: 7E5C1CF9 0003162F
	v_cvt_pk_fp8_f32 v49, v45, v46 op_sel:[0,0,1]              // 000000003394: D2A24031 00025D2D
	v_accvgpr_write_b32 a0, v48                                // 00000000339C: D3D94000 18000130
	v_accvgpr_write_b32 a1, v49                                // 0000000033A4: D3D94001 18000131
	s_nop 3                                                    // 0000000033AC: BF800003
	v_mfma_f32_16x16x32_fp8_fp8 v[128:131], a[0:1], v[144:145], v[128:131]// 0000000033B0: D3F30080 0E032100
	v_accvgpr_read_b32 v44, a17                                // 0000000033B8: D3D8402C 18000111
	v_cvt_off_f32_i4_e32 v45, v44                              // 0000000033C0: 7E5A1D2C
	v_cvt_off_f32_i4_sdwa v46, v44 dst_sel:DWORD dst_unused:UNUSED_PRESERVE src0_sel:BYTE_2// 0000000033C4: 7E5C1CF9 0002162C
	v_cvt_pk_fp8_f32 v48, v45, v46                             // 0000000033CC: D2A20030 00025D2D
	v_cvt_off_f32_i4_sdwa v45, v44 dst_sel:DWORD dst_unused:UNUSED_PRESERVE src0_sel:BYTE_1// 0000000033D4: 7E5A1CF9 0001162C
	v_cvt_off_f32_i4_sdwa v46, v44 dst_sel:DWORD dst_unused:UNUSED_PRESERVE src0_sel:BYTE_3// 0000000033DC: 7E5C1CF9 0003162C
	v_cvt_pk_fp8_f32 v49, v45, v46                             // 0000000033E4: D2A20031 00025D2D
	v_lshrrev_b32_e32 v47, 4, v44                              // 0000000033EC: 205E5884
	v_cvt_off_f32_i4_e32 v45, v47                              // 0000000033F0: 7E5A1D2F
	v_cvt_off_f32_i4_sdwa v46, v47 dst_sel:DWORD dst_unused:UNUSED_PRESERVE src0_sel:BYTE_2// 0000000033F4: 7E5C1CF9 0002162F
	v_cvt_pk_fp8_f32 v48, v45, v46 op_sel:[0,0,1]              // 0000000033FC: D2A24030 00025D2D
	v_cvt_off_f32_i4_sdwa v45, v47 dst_sel:DWORD dst_unused:UNUSED_PRESERVE src0_sel:BYTE_1// 000000003404: 7E5A1CF9 0001162F
	v_cvt_off_f32_i4_sdwa v46, v47 dst_sel:DWORD dst_unused:UNUSED_PRESERVE src0_sel:BYTE_3// 00000000340C: 7E5C1CF9 0003162F
	v_cvt_pk_fp8_f32 v49, v45, v46 op_sel:[0,0,1]              // 000000003414: D2A24031 00025D2D
	v_accvgpr_write_b32 a2, v48                                // 00000000341C: D3D94002 18000130
	v_accvgpr_write_b32 a3, v49                                // 000000003424: D3D94003 18000131
	s_nop 3                                                    // 00000000342C: BF800003
	v_mfma_f32_16x16x32_fp8_fp8 v[128:131], a[2:3], v[146:147], v[128:131]// 000000003430: D3F30080 0E032502
	buffer_load_dwordx4 a[48:51], v32, s[92:95], 0 offen       // 000000003438: E05C1000 80973020
	v_accvgpr_read_b32 v44, a18                                // 000000003440: D3D8402C 18000112
	v_cvt_off_f32_i4_e32 v45, v44                              // 000000003448: 7E5A1D2C
	v_cvt_off_f32_i4_sdwa v46, v44 dst_sel:DWORD dst_unused:UNUSED_PRESERVE src0_sel:BYTE_2// 00000000344C: 7E5C1CF9 0002162C
	v_cvt_pk_fp8_f32 v48, v45, v46                             // 000000003454: D2A20030 00025D2D
	v_cvt_off_f32_i4_sdwa v45, v44 dst_sel:DWORD dst_unused:UNUSED_PRESERVE src0_sel:BYTE_1// 00000000345C: 7E5A1CF9 0001162C
	v_cvt_off_f32_i4_sdwa v46, v44 dst_sel:DWORD dst_unused:UNUSED_PRESERVE src0_sel:BYTE_3// 000000003464: 7E5C1CF9 0003162C
	v_cvt_pk_fp8_f32 v49, v45, v46                             // 00000000346C: D2A20031 00025D2D
	v_lshrrev_b32_e32 v47, 4, v44                              // 000000003474: 205E5884
	v_cvt_off_f32_i4_e32 v45, v47                              // 000000003478: 7E5A1D2F
	v_cvt_off_f32_i4_sdwa v46, v47 dst_sel:DWORD dst_unused:UNUSED_PRESERVE src0_sel:BYTE_2// 00000000347C: 7E5C1CF9 0002162F
	v_cvt_pk_fp8_f32 v48, v45, v46 op_sel:[0,0,1]              // 000000003484: D2A24030 00025D2D
	v_cvt_off_f32_i4_sdwa v45, v47 dst_sel:DWORD dst_unused:UNUSED_PRESERVE src0_sel:BYTE_1// 00000000348C: 7E5A1CF9 0001162F
	v_cvt_off_f32_i4_sdwa v46, v47 dst_sel:DWORD dst_unused:UNUSED_PRESERVE src0_sel:BYTE_3// 000000003494: 7E5C1CF9 0003162F
	v_cvt_pk_fp8_f32 v49, v45, v46 op_sel:[0,0,1]              // 00000000349C: D2A24031 00025D2D
	v_accvgpr_write_b32 a4, v48                                // 0000000034A4: D3D94004 18000130
	v_accvgpr_write_b32 a5, v49                                // 0000000034AC: D3D94005 18000131
	s_nop 3                                                    // 0000000034B4: BF800003
	v_mfma_f32_16x16x32_fp8_fp8 v[128:131], a[4:5], v[148:149], v[128:131]// 0000000034B8: D3F30080 0E032904
	v_accvgpr_read_b32 v44, a19                                // 0000000034C0: D3D8402C 18000113
	v_cvt_off_f32_i4_e32 v45, v44                              // 0000000034C8: 7E5A1D2C
	v_cvt_off_f32_i4_sdwa v46, v44 dst_sel:DWORD dst_unused:UNUSED_PRESERVE src0_sel:BYTE_2// 0000000034CC: 7E5C1CF9 0002162C
	v_cvt_pk_fp8_f32 v48, v45, v46                             // 0000000034D4: D2A20030 00025D2D
	v_cvt_off_f32_i4_sdwa v45, v44 dst_sel:DWORD dst_unused:UNUSED_PRESERVE src0_sel:BYTE_1// 0000000034DC: 7E5A1CF9 0001162C
	v_cvt_off_f32_i4_sdwa v46, v44 dst_sel:DWORD dst_unused:UNUSED_PRESERVE src0_sel:BYTE_3// 0000000034E4: 7E5C1CF9 0003162C
	v_cvt_pk_fp8_f32 v49, v45, v46                             // 0000000034EC: D2A20031 00025D2D
	v_lshrrev_b32_e32 v47, 4, v44                              // 0000000034F4: 205E5884
	v_cvt_off_f32_i4_e32 v45, v47                              // 0000000034F8: 7E5A1D2F
	v_cvt_off_f32_i4_sdwa v46, v47 dst_sel:DWORD dst_unused:UNUSED_PRESERVE src0_sel:BYTE_2// 0000000034FC: 7E5C1CF9 0002162F
	v_cvt_pk_fp8_f32 v48, v45, v46 op_sel:[0,0,1]              // 000000003504: D2A24030 00025D2D
	v_cvt_off_f32_i4_sdwa v45, v47 dst_sel:DWORD dst_unused:UNUSED_PRESERVE src0_sel:BYTE_1// 00000000350C: 7E5A1CF9 0001162F
	v_cvt_off_f32_i4_sdwa v46, v47 dst_sel:DWORD dst_unused:UNUSED_PRESERVE src0_sel:BYTE_3// 000000003514: 7E5C1CF9 0003162F
	v_cvt_pk_fp8_f32 v49, v45, v46 op_sel:[0,0,1]              // 00000000351C: D2A24031 00025D2D
	v_accvgpr_write_b32 a6, v48                                // 000000003524: D3D94006 18000130
	v_accvgpr_write_b32 a7, v49                                // 00000000352C: D3D94007 18000131
	s_nop 3                                                    // 000000003534: BF800003
	v_mfma_f32_16x16x32_fp8_fp8 v[128:131], a[6:7], v[150:151], v[128:131]// 000000003538: D3F30080 0E032D06
	buffer_load_dword v24, s[20:23], 0 offen lds               // 000000003540: E0511000 80050018
	s_add_u32 m0, 0x100, s51                                   // 000000003548: 807C33FF 00000100
	v_accvgpr_read_b32 v44, a20                                // 000000003550: D3D8402C 18000114
	v_cvt_off_f32_i4_e32 v45, v44                              // 000000003558: 7E5A1D2C
	v_cvt_off_f32_i4_sdwa v46, v44 dst_sel:DWORD dst_unused:UNUSED_PRESERVE src0_sel:BYTE_2// 00000000355C: 7E5C1CF9 0002162C
	v_cvt_pk_fp8_f32 v48, v45, v46                             // 000000003564: D2A20030 00025D2D
	v_cvt_off_f32_i4_sdwa v45, v44 dst_sel:DWORD dst_unused:UNUSED_PRESERVE src0_sel:BYTE_1// 00000000356C: 7E5A1CF9 0001162C
	v_cvt_off_f32_i4_sdwa v46, v44 dst_sel:DWORD dst_unused:UNUSED_PRESERVE src0_sel:BYTE_3// 000000003574: 7E5C1CF9 0003162C
	v_cvt_pk_fp8_f32 v49, v45, v46                             // 00000000357C: D2A20031 00025D2D
	v_lshrrev_b32_e32 v47, 4, v44                              // 000000003584: 205E5884
	v_cvt_off_f32_i4_e32 v45, v47                              // 000000003588: 7E5A1D2F
	v_cvt_off_f32_i4_sdwa v46, v47 dst_sel:DWORD dst_unused:UNUSED_PRESERVE src0_sel:BYTE_2// 00000000358C: 7E5C1CF9 0002162F
	v_cvt_pk_fp8_f32 v48, v45, v46 op_sel:[0,0,1]              // 000000003594: D2A24030 00025D2D
	v_cvt_off_f32_i4_sdwa v45, v47 dst_sel:DWORD dst_unused:UNUSED_PRESERVE src0_sel:BYTE_1// 00000000359C: 7E5A1CF9 0001162F
	v_cvt_off_f32_i4_sdwa v46, v47 dst_sel:DWORD dst_unused:UNUSED_PRESERVE src0_sel:BYTE_3// 0000000035A4: 7E5C1CF9 0003162F
	v_cvt_pk_fp8_f32 v49, v45, v46 op_sel:[0,0,1]              // 0000000035AC: D2A24031 00025D2D
	v_accvgpr_write_b32 a8, v48                                // 0000000035B4: D3D94008 18000130
	v_accvgpr_write_b32 a9, v49                                // 0000000035BC: D3D94009 18000131
	s_nop 3                                                    // 0000000035C4: BF800003
	v_mfma_f32_16x16x32_fp8_fp8 v[128:131], a[8:9], v[152:153], v[128:131]// 0000000035C8: D3F30080 0E033108
	v_accvgpr_read_b32 v44, a21                                // 0000000035D0: D3D8402C 18000115
	v_cvt_off_f32_i4_e32 v45, v44                              // 0000000035D8: 7E5A1D2C
	v_cvt_off_f32_i4_sdwa v46, v44 dst_sel:DWORD dst_unused:UNUSED_PRESERVE src0_sel:BYTE_2// 0000000035DC: 7E5C1CF9 0002162C
	v_cvt_pk_fp8_f32 v48, v45, v46                             // 0000000035E4: D2A20030 00025D2D
	v_cvt_off_f32_i4_sdwa v45, v44 dst_sel:DWORD dst_unused:UNUSED_PRESERVE src0_sel:BYTE_1// 0000000035EC: 7E5A1CF9 0001162C
	v_cvt_off_f32_i4_sdwa v46, v44 dst_sel:DWORD dst_unused:UNUSED_PRESERVE src0_sel:BYTE_3// 0000000035F4: 7E5C1CF9 0003162C
	v_cvt_pk_fp8_f32 v49, v45, v46                             // 0000000035FC: D2A20031 00025D2D
	v_lshrrev_b32_e32 v47, 4, v44                              // 000000003604: 205E5884
	v_cvt_off_f32_i4_e32 v45, v47                              // 000000003608: 7E5A1D2F
	v_cvt_off_f32_i4_sdwa v46, v47 dst_sel:DWORD dst_unused:UNUSED_PRESERVE src0_sel:BYTE_2// 00000000360C: 7E5C1CF9 0002162F
	v_cvt_pk_fp8_f32 v48, v45, v46 op_sel:[0,0,1]              // 000000003614: D2A24030 00025D2D
	v_cvt_off_f32_i4_sdwa v45, v47 dst_sel:DWORD dst_unused:UNUSED_PRESERVE src0_sel:BYTE_1// 00000000361C: 7E5A1CF9 0001162F
	v_cvt_off_f32_i4_sdwa v46, v47 dst_sel:DWORD dst_unused:UNUSED_PRESERVE src0_sel:BYTE_3// 000000003624: 7E5C1CF9 0003162F
	v_cvt_pk_fp8_f32 v49, v45, v46 op_sel:[0,0,1]              // 00000000362C: D2A24031 00025D2D
	v_accvgpr_write_b32 a10, v48                               // 000000003634: D3D9400A 18000130
	v_accvgpr_write_b32 a11, v49                               // 00000000363C: D3D9400B 18000131
	s_nop 3                                                    // 000000003644: BF800003
	v_mfma_f32_16x16x32_fp8_fp8 v[128:131], a[10:11], v[154:155], v[128:131]// 000000003648: D3F30080 0E03350A
	v_accvgpr_read_b32 v44, a22                                // 000000003650: D3D8402C 18000116
	v_cvt_off_f32_i4_e32 v45, v44                              // 000000003658: 7E5A1D2C
	v_cvt_off_f32_i4_sdwa v46, v44 dst_sel:DWORD dst_unused:UNUSED_PRESERVE src0_sel:BYTE_2// 00000000365C: 7E5C1CF9 0002162C
	v_cvt_pk_fp8_f32 v48, v45, v46                             // 000000003664: D2A20030 00025D2D
	v_cvt_off_f32_i4_sdwa v45, v44 dst_sel:DWORD dst_unused:UNUSED_PRESERVE src0_sel:BYTE_1// 00000000366C: 7E5A1CF9 0001162C
	v_cvt_off_f32_i4_sdwa v46, v44 dst_sel:DWORD dst_unused:UNUSED_PRESERVE src0_sel:BYTE_3// 000000003674: 7E5C1CF9 0003162C
	v_cvt_pk_fp8_f32 v49, v45, v46                             // 00000000367C: D2A20031 00025D2D
	v_lshrrev_b32_e32 v47, 4, v44                              // 000000003684: 205E5884
	v_cvt_off_f32_i4_e32 v45, v47                              // 000000003688: 7E5A1D2F
	v_cvt_off_f32_i4_sdwa v46, v47 dst_sel:DWORD dst_unused:UNUSED_PRESERVE src0_sel:BYTE_2// 00000000368C: 7E5C1CF9 0002162F
	v_cvt_pk_fp8_f32 v48, v45, v46 op_sel:[0,0,1]              // 000000003694: D2A24030 00025D2D
	v_cvt_off_f32_i4_sdwa v45, v47 dst_sel:DWORD dst_unused:UNUSED_PRESERVE src0_sel:BYTE_1// 00000000369C: 7E5A1CF9 0001162F
	v_cvt_off_f32_i4_sdwa v46, v47 dst_sel:DWORD dst_unused:UNUSED_PRESERVE src0_sel:BYTE_3// 0000000036A4: 7E5C1CF9 0003162F
	v_cvt_pk_fp8_f32 v49, v45, v46 op_sel:[0,0,1]              // 0000000036AC: D2A24031 00025D2D
	v_accvgpr_write_b32 a12, v48                               // 0000000036B4: D3D9400C 18000130
	v_accvgpr_write_b32 a13, v49                               // 0000000036BC: D3D9400D 18000131
	s_nop 3                                                    // 0000000036C4: BF800003
	v_mfma_f32_16x16x32_fp8_fp8 v[128:131], a[12:13], v[156:157], v[128:131]// 0000000036C8: D3F30080 0E03390C
	v_accvgpr_read_b32 v44, a23                                // 0000000036D0: D3D8402C 18000117
	v_cvt_off_f32_i4_e32 v45, v44                              // 0000000036D8: 7E5A1D2C
	v_cvt_off_f32_i4_sdwa v46, v44 dst_sel:DWORD dst_unused:UNUSED_PRESERVE src0_sel:BYTE_2// 0000000036DC: 7E5C1CF9 0002162C
	v_cvt_pk_fp8_f32 v48, v45, v46                             // 0000000036E4: D2A20030 00025D2D
	v_cvt_off_f32_i4_sdwa v45, v44 dst_sel:DWORD dst_unused:UNUSED_PRESERVE src0_sel:BYTE_1// 0000000036EC: 7E5A1CF9 0001162C
	v_cvt_off_f32_i4_sdwa v46, v44 dst_sel:DWORD dst_unused:UNUSED_PRESERVE src0_sel:BYTE_3// 0000000036F4: 7E5C1CF9 0003162C
	v_cvt_pk_fp8_f32 v49, v45, v46                             // 0000000036FC: D2A20031 00025D2D
	v_lshrrev_b32_e32 v47, 4, v44                              // 000000003704: 205E5884
	v_cvt_off_f32_i4_e32 v45, v47                              // 000000003708: 7E5A1D2F
	v_cvt_off_f32_i4_sdwa v46, v47 dst_sel:DWORD dst_unused:UNUSED_PRESERVE src0_sel:BYTE_2// 00000000370C: 7E5C1CF9 0002162F
	v_cvt_pk_fp8_f32 v48, v45, v46 op_sel:[0,0,1]              // 000000003714: D2A24030 00025D2D
	v_cvt_off_f32_i4_sdwa v45, v47 dst_sel:DWORD dst_unused:UNUSED_PRESERVE src0_sel:BYTE_1// 00000000371C: 7E5A1CF9 0001162F
	v_cvt_off_f32_i4_sdwa v46, v47 dst_sel:DWORD dst_unused:UNUSED_PRESERVE src0_sel:BYTE_3// 000000003724: 7E5C1CF9 0003162F
	v_cvt_pk_fp8_f32 v49, v45, v46 op_sel:[0,0,1]              // 00000000372C: D2A24031 00025D2D
	v_accvgpr_write_b32 a14, v48                               // 000000003734: D3D9400E 18000130
	v_accvgpr_write_b32 a15, v49                               // 00000000373C: D3D9400F 18000131
	s_nop 3                                                    // 000000003744: BF800003
	v_mfma_f32_16x16x32_fp8_fp8 v[128:131], a[14:15], v[158:159], v[128:131]// 000000003748: D3F30080 0E033D0E
	buffer_load_dword v25, s[20:23], 0 offen lds               // 000000003750: E0511000 80050019
	s_add_u32 m0, 0x200, s51                                   // 000000003758: 807C33FF 00000200
	v_mfma_f32_16x16x32_fp8_fp8 v[132:135], a[0:1], v[160:161], v[132:135]// 000000003760: D3F30084 0E134100
	v_mfma_f32_16x16x32_fp8_fp8 v[132:135], a[2:3], v[162:163], v[132:135]// 000000003768: D3F30084 0E134502
	buffer_load_dwordx4 a[52:55], v32, s[92:95], 0 offen offset:1024// 000000003770: E05C1400 80973420
	v_mfma_f32_16x16x32_fp8_fp8 v[132:135], a[4:5], v[164:165], v[132:135]// 000000003778: D3F30084 0E134904
	v_mfma_f32_16x16x32_fp8_fp8 v[132:135], a[6:7], v[166:167], v[132:135]// 000000003780: D3F30084 0E134D06
	buffer_load_dword v26, s[20:23], 0 offen lds               // 000000003788: E0511000 8005001A
	s_add_u32 m0, 0x300, s51                                   // 000000003790: 807C33FF 00000300
	v_mfma_f32_16x16x32_fp8_fp8 v[132:135], a[8:9], v[168:169], v[132:135]// 000000003798: D3F30084 0E135108
	v_mfma_f32_16x16x32_fp8_fp8 v[132:135], a[10:11], v[170:171], v[132:135]// 0000000037A0: D3F30084 0E13550A
	v_mfma_f32_16x16x32_fp8_fp8 v[132:135], a[12:13], v[172:173], v[132:135]// 0000000037A8: D3F30084 0E13590C
	v_mfma_f32_16x16x32_fp8_fp8 v[132:135], a[14:15], v[174:175], v[132:135]// 0000000037B0: D3F30084 0E135D0E
	buffer_load_dword v27, s[20:23], 0 offen lds               // 0000000037B8: E0511000 8005001B
	s_add_u32 m0, 0x400, s51                                   // 0000000037C0: 807C33FF 00000400
	v_accvgpr_read_b32 v44, a24                                // 0000000037C8: D3D8402C 18000118
	v_cvt_off_f32_i4_e32 v45, v44                              // 0000000037D0: 7E5A1D2C
	v_cvt_off_f32_i4_sdwa v46, v44 dst_sel:DWORD dst_unused:UNUSED_PRESERVE src0_sel:BYTE_2// 0000000037D4: 7E5C1CF9 0002162C
	v_cvt_pk_fp8_f32 v48, v45, v46                             // 0000000037DC: D2A20030 00025D2D
	v_cvt_off_f32_i4_sdwa v45, v44 dst_sel:DWORD dst_unused:UNUSED_PRESERVE src0_sel:BYTE_1// 0000000037E4: 7E5A1CF9 0001162C
	v_cvt_off_f32_i4_sdwa v46, v44 dst_sel:DWORD dst_unused:UNUSED_PRESERVE src0_sel:BYTE_3// 0000000037EC: 7E5C1CF9 0003162C
	v_cvt_pk_fp8_f32 v49, v45, v46                             // 0000000037F4: D2A20031 00025D2D
	v_lshrrev_b32_e32 v47, 4, v44                              // 0000000037FC: 205E5884
	v_cvt_off_f32_i4_e32 v45, v47                              // 000000003800: 7E5A1D2F
	v_cvt_off_f32_i4_sdwa v46, v47 dst_sel:DWORD dst_unused:UNUSED_PRESERVE src0_sel:BYTE_2// 000000003804: 7E5C1CF9 0002162F
	v_cvt_pk_fp8_f32 v48, v45, v46 op_sel:[0,0,1]              // 00000000380C: D2A24030 00025D2D
	v_cvt_off_f32_i4_sdwa v45, v47 dst_sel:DWORD dst_unused:UNUSED_PRESERVE src0_sel:BYTE_1// 000000003814: 7E5A1CF9 0001162F
	v_cvt_off_f32_i4_sdwa v46, v47 dst_sel:DWORD dst_unused:UNUSED_PRESERVE src0_sel:BYTE_3// 00000000381C: 7E5C1CF9 0003162F
	v_cvt_pk_fp8_f32 v49, v45, v46 op_sel:[0,0,1]              // 000000003824: D2A24031 00025D2D
	v_accvgpr_write_b32 a16, v48                               // 00000000382C: D3D94010 18000130
	v_accvgpr_write_b32 a17, v49                               // 000000003834: D3D94011 18000131
	s_nop 3                                                    // 00000000383C: BF800003
	v_mfma_f32_16x16x32_fp8_fp8 v[136:139], a[16:17], v[144:145], v[136:139]// 000000003840: D3F30088 0E232110
	v_accvgpr_read_b32 v44, a25                                // 000000003848: D3D8402C 18000119
	v_cvt_off_f32_i4_e32 v45, v44                              // 000000003850: 7E5A1D2C
	v_cvt_off_f32_i4_sdwa v46, v44 dst_sel:DWORD dst_unused:UNUSED_PRESERVE src0_sel:BYTE_2// 000000003854: 7E5C1CF9 0002162C
	v_cvt_pk_fp8_f32 v48, v45, v46                             // 00000000385C: D2A20030 00025D2D
	v_cvt_off_f32_i4_sdwa v45, v44 dst_sel:DWORD dst_unused:UNUSED_PRESERVE src0_sel:BYTE_1// 000000003864: 7E5A1CF9 0001162C
	v_cvt_off_f32_i4_sdwa v46, v44 dst_sel:DWORD dst_unused:UNUSED_PRESERVE src0_sel:BYTE_3// 00000000386C: 7E5C1CF9 0003162C
	v_cvt_pk_fp8_f32 v49, v45, v46                             // 000000003874: D2A20031 00025D2D
	v_lshrrev_b32_e32 v47, 4, v44                              // 00000000387C: 205E5884
	v_cvt_off_f32_i4_e32 v45, v47                              // 000000003880: 7E5A1D2F
	v_cvt_off_f32_i4_sdwa v46, v47 dst_sel:DWORD dst_unused:UNUSED_PRESERVE src0_sel:BYTE_2// 000000003884: 7E5C1CF9 0002162F
	v_cvt_pk_fp8_f32 v48, v45, v46 op_sel:[0,0,1]              // 00000000388C: D2A24030 00025D2D
	v_cvt_off_f32_i4_sdwa v45, v47 dst_sel:DWORD dst_unused:UNUSED_PRESERVE src0_sel:BYTE_1// 000000003894: 7E5A1CF9 0001162F
	v_cvt_off_f32_i4_sdwa v46, v47 dst_sel:DWORD dst_unused:UNUSED_PRESERVE src0_sel:BYTE_3// 00000000389C: 7E5C1CF9 0003162F
	v_cvt_pk_fp8_f32 v49, v45, v46 op_sel:[0,0,1]              // 0000000038A4: D2A24031 00025D2D
	v_accvgpr_write_b32 a18, v48                               // 0000000038AC: D3D94012 18000130
	v_accvgpr_write_b32 a19, v49                               // 0000000038B4: D3D94013 18000131
	s_nop 3                                                    // 0000000038BC: BF800003
	v_mfma_f32_16x16x32_fp8_fp8 v[136:139], a[18:19], v[146:147], v[136:139]// 0000000038C0: D3F30088 0E232512
	buffer_load_dwordx4 a[56:59], v33, s[92:95], 0 offen       // 0000000038C8: E05C1000 80973821
	v_accvgpr_read_b32 v44, a26                                // 0000000038D0: D3D8402C 1800011A
	v_cvt_off_f32_i4_e32 v45, v44                              // 0000000038D8: 7E5A1D2C
	v_cvt_off_f32_i4_sdwa v46, v44 dst_sel:DWORD dst_unused:UNUSED_PRESERVE src0_sel:BYTE_2// 0000000038DC: 7E5C1CF9 0002162C
	v_cvt_pk_fp8_f32 v48, v45, v46                             // 0000000038E4: D2A20030 00025D2D
	v_cvt_off_f32_i4_sdwa v45, v44 dst_sel:DWORD dst_unused:UNUSED_PRESERVE src0_sel:BYTE_1// 0000000038EC: 7E5A1CF9 0001162C
	v_cvt_off_f32_i4_sdwa v46, v44 dst_sel:DWORD dst_unused:UNUSED_PRESERVE src0_sel:BYTE_3// 0000000038F4: 7E5C1CF9 0003162C
	v_cvt_pk_fp8_f32 v49, v45, v46                             // 0000000038FC: D2A20031 00025D2D
	v_lshrrev_b32_e32 v47, 4, v44                              // 000000003904: 205E5884
	v_cvt_off_f32_i4_e32 v45, v47                              // 000000003908: 7E5A1D2F
	v_cvt_off_f32_i4_sdwa v46, v47 dst_sel:DWORD dst_unused:UNUSED_PRESERVE src0_sel:BYTE_2// 00000000390C: 7E5C1CF9 0002162F
	v_cvt_pk_fp8_f32 v48, v45, v46 op_sel:[0,0,1]              // 000000003914: D2A24030 00025D2D
	v_cvt_off_f32_i4_sdwa v45, v47 dst_sel:DWORD dst_unused:UNUSED_PRESERVE src0_sel:BYTE_1// 00000000391C: 7E5A1CF9 0001162F
	v_cvt_off_f32_i4_sdwa v46, v47 dst_sel:DWORD dst_unused:UNUSED_PRESERVE src0_sel:BYTE_3// 000000003924: 7E5C1CF9 0003162F
	v_cvt_pk_fp8_f32 v49, v45, v46 op_sel:[0,0,1]              // 00000000392C: D2A24031 00025D2D
	v_accvgpr_write_b32 a20, v48                               // 000000003934: D3D94014 18000130
	v_accvgpr_write_b32 a21, v49                               // 00000000393C: D3D94015 18000131
	s_nop 3                                                    // 000000003944: BF800003
	v_mfma_f32_16x16x32_fp8_fp8 v[136:139], a[20:21], v[148:149], v[136:139]// 000000003948: D3F30088 0E232914
	v_accvgpr_read_b32 v44, a27                                // 000000003950: D3D8402C 1800011B
	v_cvt_off_f32_i4_e32 v45, v44                              // 000000003958: 7E5A1D2C
	v_cvt_off_f32_i4_sdwa v46, v44 dst_sel:DWORD dst_unused:UNUSED_PRESERVE src0_sel:BYTE_2// 00000000395C: 7E5C1CF9 0002162C
	v_cvt_pk_fp8_f32 v48, v45, v46                             // 000000003964: D2A20030 00025D2D
	v_cvt_off_f32_i4_sdwa v45, v44 dst_sel:DWORD dst_unused:UNUSED_PRESERVE src0_sel:BYTE_1// 00000000396C: 7E5A1CF9 0001162C
	v_cvt_off_f32_i4_sdwa v46, v44 dst_sel:DWORD dst_unused:UNUSED_PRESERVE src0_sel:BYTE_3// 000000003974: 7E5C1CF9 0003162C
	v_cvt_pk_fp8_f32 v49, v45, v46                             // 00000000397C: D2A20031 00025D2D
	v_lshrrev_b32_e32 v47, 4, v44                              // 000000003984: 205E5884
	v_cvt_off_f32_i4_e32 v45, v47                              // 000000003988: 7E5A1D2F
	v_cvt_off_f32_i4_sdwa v46, v47 dst_sel:DWORD dst_unused:UNUSED_PRESERVE src0_sel:BYTE_2// 00000000398C: 7E5C1CF9 0002162F
	v_cvt_pk_fp8_f32 v48, v45, v46 op_sel:[0,0,1]              // 000000003994: D2A24030 00025D2D
	v_cvt_off_f32_i4_sdwa v45, v47 dst_sel:DWORD dst_unused:UNUSED_PRESERVE src0_sel:BYTE_1// 00000000399C: 7E5A1CF9 0001162F
	v_cvt_off_f32_i4_sdwa v46, v47 dst_sel:DWORD dst_unused:UNUSED_PRESERVE src0_sel:BYTE_3// 0000000039A4: 7E5C1CF9 0003162F
	v_cvt_pk_fp8_f32 v49, v45, v46 op_sel:[0,0,1]              // 0000000039AC: D2A24031 00025D2D
	v_accvgpr_write_b32 a22, v48                               // 0000000039B4: D3D94016 18000130
	v_accvgpr_write_b32 a23, v49                               // 0000000039BC: D3D94017 18000131
	s_nop 3                                                    // 0000000039C4: BF800003
	v_mfma_f32_16x16x32_fp8_fp8 v[136:139], a[22:23], v[150:151], v[136:139]// 0000000039C8: D3F30088 0E232D16
	buffer_load_dword v28, s[20:23], 0 offen lds               // 0000000039D0: E0511000 8005001C
	s_add_u32 m0, 0x500, s51                                   // 0000000039D8: 807C33FF 00000500
	v_accvgpr_read_b32 v44, a28                                // 0000000039E0: D3D8402C 1800011C
	v_cvt_off_f32_i4_e32 v45, v44                              // 0000000039E8: 7E5A1D2C
	v_cvt_off_f32_i4_sdwa v46, v44 dst_sel:DWORD dst_unused:UNUSED_PRESERVE src0_sel:BYTE_2// 0000000039EC: 7E5C1CF9 0002162C
	v_cvt_pk_fp8_f32 v48, v45, v46                             // 0000000039F4: D2A20030 00025D2D
	v_cvt_off_f32_i4_sdwa v45, v44 dst_sel:DWORD dst_unused:UNUSED_PRESERVE src0_sel:BYTE_1// 0000000039FC: 7E5A1CF9 0001162C
	v_cvt_off_f32_i4_sdwa v46, v44 dst_sel:DWORD dst_unused:UNUSED_PRESERVE src0_sel:BYTE_3// 000000003A04: 7E5C1CF9 0003162C
	v_cvt_pk_fp8_f32 v49, v45, v46                             // 000000003A0C: D2A20031 00025D2D
	v_lshrrev_b32_e32 v47, 4, v44                              // 000000003A14: 205E5884
	v_cvt_off_f32_i4_e32 v45, v47                              // 000000003A18: 7E5A1D2F
	v_cvt_off_f32_i4_sdwa v46, v47 dst_sel:DWORD dst_unused:UNUSED_PRESERVE src0_sel:BYTE_2// 000000003A1C: 7E5C1CF9 0002162F
	v_cvt_pk_fp8_f32 v48, v45, v46 op_sel:[0,0,1]              // 000000003A24: D2A24030 00025D2D
	v_cvt_off_f32_i4_sdwa v45, v47 dst_sel:DWORD dst_unused:UNUSED_PRESERVE src0_sel:BYTE_1// 000000003A2C: 7E5A1CF9 0001162F
	v_cvt_off_f32_i4_sdwa v46, v47 dst_sel:DWORD dst_unused:UNUSED_PRESERVE src0_sel:BYTE_3// 000000003A34: 7E5C1CF9 0003162F
	v_cvt_pk_fp8_f32 v49, v45, v46 op_sel:[0,0,1]              // 000000003A3C: D2A24031 00025D2D
	v_accvgpr_write_b32 a24, v48                               // 000000003A44: D3D94018 18000130
	v_accvgpr_write_b32 a25, v49                               // 000000003A4C: D3D94019 18000131
	s_nop 3                                                    // 000000003A54: BF800003
	v_mfma_f32_16x16x32_fp8_fp8 v[136:139], a[24:25], v[152:153], v[136:139]// 000000003A58: D3F30088 0E233118
	v_accvgpr_read_b32 v44, a29                                // 000000003A60: D3D8402C 1800011D
	v_cvt_off_f32_i4_e32 v45, v44                              // 000000003A68: 7E5A1D2C
	v_cvt_off_f32_i4_sdwa v46, v44 dst_sel:DWORD dst_unused:UNUSED_PRESERVE src0_sel:BYTE_2// 000000003A6C: 7E5C1CF9 0002162C
	v_cvt_pk_fp8_f32 v48, v45, v46                             // 000000003A74: D2A20030 00025D2D
	v_cvt_off_f32_i4_sdwa v45, v44 dst_sel:DWORD dst_unused:UNUSED_PRESERVE src0_sel:BYTE_1// 000000003A7C: 7E5A1CF9 0001162C
	v_cvt_off_f32_i4_sdwa v46, v44 dst_sel:DWORD dst_unused:UNUSED_PRESERVE src0_sel:BYTE_3// 000000003A84: 7E5C1CF9 0003162C
	v_cvt_pk_fp8_f32 v49, v45, v46                             // 000000003A8C: D2A20031 00025D2D
	v_lshrrev_b32_e32 v47, 4, v44                              // 000000003A94: 205E5884
	v_cvt_off_f32_i4_e32 v45, v47                              // 000000003A98: 7E5A1D2F
	v_cvt_off_f32_i4_sdwa v46, v47 dst_sel:DWORD dst_unused:UNUSED_PRESERVE src0_sel:BYTE_2// 000000003A9C: 7E5C1CF9 0002162F
	v_cvt_pk_fp8_f32 v48, v45, v46 op_sel:[0,0,1]              // 000000003AA4: D2A24030 00025D2D
	v_cvt_off_f32_i4_sdwa v45, v47 dst_sel:DWORD dst_unused:UNUSED_PRESERVE src0_sel:BYTE_1// 000000003AAC: 7E5A1CF9 0001162F
	v_cvt_off_f32_i4_sdwa v46, v47 dst_sel:DWORD dst_unused:UNUSED_PRESERVE src0_sel:BYTE_3// 000000003AB4: 7E5C1CF9 0003162F
	v_cvt_pk_fp8_f32 v49, v45, v46 op_sel:[0,0,1]              // 000000003ABC: D2A24031 00025D2D
	v_accvgpr_write_b32 a26, v48                               // 000000003AC4: D3D9401A 18000130
	v_accvgpr_write_b32 a27, v49                               // 000000003ACC: D3D9401B 18000131
	s_nop 3                                                    // 000000003AD4: BF800003
	v_mfma_f32_16x16x32_fp8_fp8 v[136:139], a[26:27], v[154:155], v[136:139]// 000000003AD8: D3F30088 0E23351A
	v_accvgpr_read_b32 v44, a30                                // 000000003AE0: D3D8402C 1800011E
	v_cvt_off_f32_i4_e32 v45, v44                              // 000000003AE8: 7E5A1D2C
	v_cvt_off_f32_i4_sdwa v46, v44 dst_sel:DWORD dst_unused:UNUSED_PRESERVE src0_sel:BYTE_2// 000000003AEC: 7E5C1CF9 0002162C
	v_cvt_pk_fp8_f32 v48, v45, v46                             // 000000003AF4: D2A20030 00025D2D
	v_cvt_off_f32_i4_sdwa v45, v44 dst_sel:DWORD dst_unused:UNUSED_PRESERVE src0_sel:BYTE_1// 000000003AFC: 7E5A1CF9 0001162C
	v_cvt_off_f32_i4_sdwa v46, v44 dst_sel:DWORD dst_unused:UNUSED_PRESERVE src0_sel:BYTE_3// 000000003B04: 7E5C1CF9 0003162C
	v_cvt_pk_fp8_f32 v49, v45, v46                             // 000000003B0C: D2A20031 00025D2D
	v_lshrrev_b32_e32 v47, 4, v44                              // 000000003B14: 205E5884
	v_cvt_off_f32_i4_e32 v45, v47                              // 000000003B18: 7E5A1D2F
	v_cvt_off_f32_i4_sdwa v46, v47 dst_sel:DWORD dst_unused:UNUSED_PRESERVE src0_sel:BYTE_2// 000000003B1C: 7E5C1CF9 0002162F
	v_cvt_pk_fp8_f32 v48, v45, v46 op_sel:[0,0,1]              // 000000003B24: D2A24030 00025D2D
	v_cvt_off_f32_i4_sdwa v45, v47 dst_sel:DWORD dst_unused:UNUSED_PRESERVE src0_sel:BYTE_1// 000000003B2C: 7E5A1CF9 0001162F
	v_cvt_off_f32_i4_sdwa v46, v47 dst_sel:DWORD dst_unused:UNUSED_PRESERVE src0_sel:BYTE_3// 000000003B34: 7E5C1CF9 0003162F
	v_cvt_pk_fp8_f32 v49, v45, v46 op_sel:[0,0,1]              // 000000003B3C: D2A24031 00025D2D
	v_accvgpr_write_b32 a28, v48                               // 000000003B44: D3D9401C 18000130
	v_accvgpr_write_b32 a29, v49                               // 000000003B4C: D3D9401D 18000131
	s_nop 3                                                    // 000000003B54: BF800003
	v_mfma_f32_16x16x32_fp8_fp8 v[136:139], a[28:29], v[156:157], v[136:139]// 000000003B58: D3F30088 0E23391C
	v_accvgpr_read_b32 v44, a31                                // 000000003B60: D3D8402C 1800011F
	v_cvt_off_f32_i4_e32 v45, v44                              // 000000003B68: 7E5A1D2C
	v_cvt_off_f32_i4_sdwa v46, v44 dst_sel:DWORD dst_unused:UNUSED_PRESERVE src0_sel:BYTE_2// 000000003B6C: 7E5C1CF9 0002162C
	v_cvt_pk_fp8_f32 v48, v45, v46                             // 000000003B74: D2A20030 00025D2D
	v_cvt_off_f32_i4_sdwa v45, v44 dst_sel:DWORD dst_unused:UNUSED_PRESERVE src0_sel:BYTE_1// 000000003B7C: 7E5A1CF9 0001162C
	v_cvt_off_f32_i4_sdwa v46, v44 dst_sel:DWORD dst_unused:UNUSED_PRESERVE src0_sel:BYTE_3// 000000003B84: 7E5C1CF9 0003162C
	v_cvt_pk_fp8_f32 v49, v45, v46                             // 000000003B8C: D2A20031 00025D2D
	v_lshrrev_b32_e32 v47, 4, v44                              // 000000003B94: 205E5884
	v_cvt_off_f32_i4_e32 v45, v47                              // 000000003B98: 7E5A1D2F
	v_cvt_off_f32_i4_sdwa v46, v47 dst_sel:DWORD dst_unused:UNUSED_PRESERVE src0_sel:BYTE_2// 000000003B9C: 7E5C1CF9 0002162F
	v_cvt_pk_fp8_f32 v48, v45, v46 op_sel:[0,0,1]              // 000000003BA4: D2A24030 00025D2D
	v_cvt_off_f32_i4_sdwa v45, v47 dst_sel:DWORD dst_unused:UNUSED_PRESERVE src0_sel:BYTE_1// 000000003BAC: 7E5A1CF9 0001162F
	v_cvt_off_f32_i4_sdwa v46, v47 dst_sel:DWORD dst_unused:UNUSED_PRESERVE src0_sel:BYTE_3// 000000003BB4: 7E5C1CF9 0003162F
	v_cvt_pk_fp8_f32 v49, v45, v46 op_sel:[0,0,1]              // 000000003BBC: D2A24031 00025D2D
	v_accvgpr_write_b32 a30, v48                               // 000000003BC4: D3D9401E 18000130
	v_accvgpr_write_b32 a31, v49                               // 000000003BCC: D3D9401F 18000131
	s_nop 3                                                    // 000000003BD4: BF800003
	v_mfma_f32_16x16x32_fp8_fp8 v[136:139], a[30:31], v[158:159], v[136:139]// 000000003BD8: D3F30088 0E233D1E
	buffer_load_dword v29, s[20:23], 0 offen lds               // 000000003BE0: E0511000 8005001D
	s_add_u32 m0, 0x600, s51                                   // 000000003BE8: 807C33FF 00000600
	v_mfma_f32_16x16x32_fp8_fp8 v[140:143], a[16:17], v[160:161], v[140:143]// 000000003BF0: D3F3008C 0E334110
	v_mfma_f32_16x16x32_fp8_fp8 v[140:143], a[18:19], v[162:163], v[140:143]// 000000003BF8: D3F3008C 0E334512
	buffer_load_dwordx4 a[60:63], v33, s[92:95], 0 offen offset:1024// 000000003C00: E05C1400 80973C21
	v_mfma_f32_16x16x32_fp8_fp8 v[140:143], a[20:21], v[164:165], v[140:143]// 000000003C08: D3F3008C 0E334914
	v_mfma_f32_16x16x32_fp8_fp8 v[140:143], a[22:23], v[166:167], v[140:143]// 000000003C10: D3F3008C 0E334D16
	buffer_load_dword v30, s[20:23], 0 offen lds               // 000000003C18: E0511000 8005001E
	s_add_u32 m0, 0x700, s51                                   // 000000003C20: 807C33FF 00000700
	v_mfma_f32_16x16x32_fp8_fp8 v[140:143], a[24:25], v[168:169], v[140:143]// 000000003C28: D3F3008C 0E335118
	v_mfma_f32_16x16x32_fp8_fp8 v[140:143], a[26:27], v[170:171], v[140:143]// 000000003C30: D3F3008C 0E33551A
	v_mfma_f32_16x16x32_fp8_fp8 v[140:143], a[28:29], v[172:173], v[140:143]// 000000003C38: D3F3008C 0E33591C
	v_mfma_f32_16x16x32_fp8_fp8 v[140:143], a[30:31], v[174:175], v[140:143]// 000000003C40: D3F3008C 0E335D1E
	buffer_load_dword v31, s[20:23], 0 offen lds               // 000000003C48: E0511000 8005001F
	s_add_u32 m0, 0, s50                                       // 000000003C50: 807C3280
	s_waitcnt vmcnt(0)                                         // 000000003C54: BF8C0F70
	s_barrier                                                  // 000000003C58: BF8A0000
	v_accvgpr_read_b32 v44, a48                                // 000000003C5C: D3D8402C 18000130
	v_cvt_off_f32_i4_e32 v45, v44                              // 000000003C64: 7E5A1D2C
	v_cvt_off_f32_i4_sdwa v46, v44 dst_sel:DWORD dst_unused:UNUSED_PRESERVE src0_sel:BYTE_2// 000000003C68: 7E5C1CF9 0002162C
	v_cvt_pk_fp8_f32 v48, v45, v46                             // 000000003C70: D2A20030 00025D2D
	v_cvt_off_f32_i4_sdwa v45, v44 dst_sel:DWORD dst_unused:UNUSED_PRESERVE src0_sel:BYTE_1// 000000003C78: 7E5A1CF9 0001162C
	v_cvt_off_f32_i4_sdwa v46, v44 dst_sel:DWORD dst_unused:UNUSED_PRESERVE src0_sel:BYTE_3// 000000003C80: 7E5C1CF9 0003162C
	v_cvt_pk_fp8_f32 v49, v45, v46                             // 000000003C88: D2A20031 00025D2D
	v_lshrrev_b32_e32 v47, 4, v44                              // 000000003C90: 205E5884
	v_cvt_off_f32_i4_e32 v45, v47                              // 000000003C94: 7E5A1D2F
	v_cvt_off_f32_i4_sdwa v46, v47 dst_sel:DWORD dst_unused:UNUSED_PRESERVE src0_sel:BYTE_2// 000000003C98: 7E5C1CF9 0002162F
	v_cvt_pk_fp8_f32 v48, v45, v46 op_sel:[0,0,1]              // 000000003CA0: D2A24030 00025D2D
	v_cvt_off_f32_i4_sdwa v45, v47 dst_sel:DWORD dst_unused:UNUSED_PRESERVE src0_sel:BYTE_1// 000000003CA8: 7E5A1CF9 0001162F
	v_cvt_off_f32_i4_sdwa v46, v47 dst_sel:DWORD dst_unused:UNUSED_PRESERVE src0_sel:BYTE_3// 000000003CB0: 7E5C1CF9 0003162F
	v_cvt_pk_fp8_f32 v49, v45, v46 op_sel:[0,0,1]              // 000000003CB8: D2A24031 00025D2D
	v_accvgpr_write_b32 a32, v48                               // 000000003CC0: D3D94020 18000130
	v_accvgpr_write_b32 a33, v49                               // 000000003CC8: D3D94021 18000131
	s_nop 3                                                    // 000000003CD0: BF800003
	v_mfma_f32_16x16x32_fp8_fp8 v[64:67], a[32:33], v[144:145], v[64:67]// 000000003CD4: D3F30040 0D032120
	v_accvgpr_read_b32 v44, a49                                // 000000003CDC: D3D8402C 18000131
	v_cvt_off_f32_i4_e32 v45, v44                              // 000000003CE4: 7E5A1D2C
	v_cvt_off_f32_i4_sdwa v46, v44 dst_sel:DWORD dst_unused:UNUSED_PRESERVE src0_sel:BYTE_2// 000000003CE8: 7E5C1CF9 0002162C
	v_cvt_pk_fp8_f32 v48, v45, v46                             // 000000003CF0: D2A20030 00025D2D
	v_cvt_off_f32_i4_sdwa v45, v44 dst_sel:DWORD dst_unused:UNUSED_PRESERVE src0_sel:BYTE_1// 000000003CF8: 7E5A1CF9 0001162C
	v_cvt_off_f32_i4_sdwa v46, v44 dst_sel:DWORD dst_unused:UNUSED_PRESERVE src0_sel:BYTE_3// 000000003D00: 7E5C1CF9 0003162C
	v_cvt_pk_fp8_f32 v49, v45, v46                             // 000000003D08: D2A20031 00025D2D
	v_lshrrev_b32_e32 v47, 4, v44                              // 000000003D10: 205E5884
	v_cvt_off_f32_i4_e32 v45, v47                              // 000000003D14: 7E5A1D2F
	v_cvt_off_f32_i4_sdwa v46, v47 dst_sel:DWORD dst_unused:UNUSED_PRESERVE src0_sel:BYTE_2// 000000003D18: 7E5C1CF9 0002162F
	v_cvt_pk_fp8_f32 v48, v45, v46 op_sel:[0,0,1]              // 000000003D20: D2A24030 00025D2D
	v_cvt_off_f32_i4_sdwa v45, v47 dst_sel:DWORD dst_unused:UNUSED_PRESERVE src0_sel:BYTE_1// 000000003D28: 7E5A1CF9 0001162F
	v_cvt_off_f32_i4_sdwa v46, v47 dst_sel:DWORD dst_unused:UNUSED_PRESERVE src0_sel:BYTE_3// 000000003D30: 7E5C1CF9 0003162F
	v_cvt_pk_fp8_f32 v49, v45, v46 op_sel:[0,0,1]              // 000000003D38: D2A24031 00025D2D
	v_accvgpr_write_b32 a34, v48                               // 000000003D40: D3D94022 18000130
	v_accvgpr_write_b32 a35, v49                               // 000000003D48: D3D94023 18000131
	s_nop 3                                                    // 000000003D50: BF800003
	v_mfma_f32_16x16x32_fp8_fp8 v[64:67], a[34:35], v[146:147], v[64:67]// 000000003D54: D3F30040 0D032522
	buffer_load_dwordx4 a[16:19], v32, s[24:27], 0 offen       // 000000003D5C: E05C1000 80861020
	v_accvgpr_read_b32 v44, a50                                // 000000003D64: D3D8402C 18000132
	v_cvt_off_f32_i4_e32 v45, v44                              // 000000003D6C: 7E5A1D2C
	v_cvt_off_f32_i4_sdwa v46, v44 dst_sel:DWORD dst_unused:UNUSED_PRESERVE src0_sel:BYTE_2// 000000003D70: 7E5C1CF9 0002162C
	v_cvt_pk_fp8_f32 v48, v45, v46                             // 000000003D78: D2A20030 00025D2D
	v_cvt_off_f32_i4_sdwa v45, v44 dst_sel:DWORD dst_unused:UNUSED_PRESERVE src0_sel:BYTE_1// 000000003D80: 7E5A1CF9 0001162C
	v_cvt_off_f32_i4_sdwa v46, v44 dst_sel:DWORD dst_unused:UNUSED_PRESERVE src0_sel:BYTE_3// 000000003D88: 7E5C1CF9 0003162C
	v_cvt_pk_fp8_f32 v49, v45, v46                             // 000000003D90: D2A20031 00025D2D
	v_lshrrev_b32_e32 v47, 4, v44                              // 000000003D98: 205E5884
	v_cvt_off_f32_i4_e32 v45, v47                              // 000000003D9C: 7E5A1D2F
	v_cvt_off_f32_i4_sdwa v46, v47 dst_sel:DWORD dst_unused:UNUSED_PRESERVE src0_sel:BYTE_2// 000000003DA0: 7E5C1CF9 0002162F
	v_cvt_pk_fp8_f32 v48, v45, v46 op_sel:[0,0,1]              // 000000003DA8: D2A24030 00025D2D
	v_cvt_off_f32_i4_sdwa v45, v47 dst_sel:DWORD dst_unused:UNUSED_PRESERVE src0_sel:BYTE_1// 000000003DB0: 7E5A1CF9 0001162F
	v_cvt_off_f32_i4_sdwa v46, v47 dst_sel:DWORD dst_unused:UNUSED_PRESERVE src0_sel:BYTE_3// 000000003DB8: 7E5C1CF9 0003162F
	v_cvt_pk_fp8_f32 v49, v45, v46 op_sel:[0,0,1]              // 000000003DC0: D2A24031 00025D2D
	v_accvgpr_write_b32 a36, v48                               // 000000003DC8: D3D94024 18000130
	v_accvgpr_write_b32 a37, v49                               // 000000003DD0: D3D94025 18000131
	s_nop 3                                                    // 000000003DD8: BF800003
	v_mfma_f32_16x16x32_fp8_fp8 v[64:67], a[36:37], v[148:149], v[64:67]// 000000003DDC: D3F30040 0D032924
	v_accvgpr_read_b32 v44, a51                                // 000000003DE4: D3D8402C 18000133
	v_cvt_off_f32_i4_e32 v45, v44                              // 000000003DEC: 7E5A1D2C
	v_cvt_off_f32_i4_sdwa v46, v44 dst_sel:DWORD dst_unused:UNUSED_PRESERVE src0_sel:BYTE_2// 000000003DF0: 7E5C1CF9 0002162C
	v_cvt_pk_fp8_f32 v48, v45, v46                             // 000000003DF8: D2A20030 00025D2D
	v_cvt_off_f32_i4_sdwa v45, v44 dst_sel:DWORD dst_unused:UNUSED_PRESERVE src0_sel:BYTE_1// 000000003E00: 7E5A1CF9 0001162C
	v_cvt_off_f32_i4_sdwa v46, v44 dst_sel:DWORD dst_unused:UNUSED_PRESERVE src0_sel:BYTE_3// 000000003E08: 7E5C1CF9 0003162C
	v_cvt_pk_fp8_f32 v49, v45, v46                             // 000000003E10: D2A20031 00025D2D
	v_lshrrev_b32_e32 v47, 4, v44                              // 000000003E18: 205E5884
	v_cvt_off_f32_i4_e32 v45, v47                              // 000000003E1C: 7E5A1D2F
	v_cvt_off_f32_i4_sdwa v46, v47 dst_sel:DWORD dst_unused:UNUSED_PRESERVE src0_sel:BYTE_2// 000000003E20: 7E5C1CF9 0002162F
	v_cvt_pk_fp8_f32 v48, v45, v46 op_sel:[0,0,1]              // 000000003E28: D2A24030 00025D2D
	v_cvt_off_f32_i4_sdwa v45, v47 dst_sel:DWORD dst_unused:UNUSED_PRESERVE src0_sel:BYTE_1// 000000003E30: 7E5A1CF9 0001162F
	v_cvt_off_f32_i4_sdwa v46, v47 dst_sel:DWORD dst_unused:UNUSED_PRESERVE src0_sel:BYTE_3// 000000003E38: 7E5C1CF9 0003162F
	v_cvt_pk_fp8_f32 v49, v45, v46 op_sel:[0,0,1]              // 000000003E40: D2A24031 00025D2D
	v_accvgpr_write_b32 a38, v48                               // 000000003E48: D3D94026 18000130
	v_accvgpr_write_b32 a39, v49                               // 000000003E50: D3D94027 18000131
	s_nop 3                                                    // 000000003E58: BF800003
	v_mfma_f32_16x16x32_fp8_fp8 v[64:67], a[38:39], v[150:151], v[64:67]// 000000003E5C: D3F30040 0D032D26
	ds_read_b128 v[176:179], v2 offset:8320                    // 000000003E64: D9FE2080 B0000002
	v_accvgpr_read_b32 v44, a52                                // 000000003E6C: D3D8402C 18000134
	v_cvt_off_f32_i4_e32 v45, v44                              // 000000003E74: 7E5A1D2C
	v_cvt_off_f32_i4_sdwa v46, v44 dst_sel:DWORD dst_unused:UNUSED_PRESERVE src0_sel:BYTE_2// 000000003E78: 7E5C1CF9 0002162C
	v_cvt_pk_fp8_f32 v48, v45, v46                             // 000000003E80: D2A20030 00025D2D
	v_cvt_off_f32_i4_sdwa v45, v44 dst_sel:DWORD dst_unused:UNUSED_PRESERVE src0_sel:BYTE_1// 000000003E88: 7E5A1CF9 0001162C
	v_cvt_off_f32_i4_sdwa v46, v44 dst_sel:DWORD dst_unused:UNUSED_PRESERVE src0_sel:BYTE_3// 000000003E90: 7E5C1CF9 0003162C
	v_cvt_pk_fp8_f32 v49, v45, v46                             // 000000003E98: D2A20031 00025D2D
	v_lshrrev_b32_e32 v47, 4, v44                              // 000000003EA0: 205E5884
	v_cvt_off_f32_i4_e32 v45, v47                              // 000000003EA4: 7E5A1D2F
	v_cvt_off_f32_i4_sdwa v46, v47 dst_sel:DWORD dst_unused:UNUSED_PRESERVE src0_sel:BYTE_2// 000000003EA8: 7E5C1CF9 0002162F
	v_cvt_pk_fp8_f32 v48, v45, v46 op_sel:[0,0,1]              // 000000003EB0: D2A24030 00025D2D
	v_cvt_off_f32_i4_sdwa v45, v47 dst_sel:DWORD dst_unused:UNUSED_PRESERVE src0_sel:BYTE_1// 000000003EB8: 7E5A1CF9 0001162F
	v_cvt_off_f32_i4_sdwa v46, v47 dst_sel:DWORD dst_unused:UNUSED_PRESERVE src0_sel:BYTE_3// 000000003EC0: 7E5C1CF9 0003162F
	v_cvt_pk_fp8_f32 v49, v45, v46 op_sel:[0,0,1]              // 000000003EC8: D2A24031 00025D2D
	v_accvgpr_write_b32 a40, v48                               // 000000003ED0: D3D94028 18000130
	v_accvgpr_write_b32 a41, v49                               // 000000003ED8: D3D94029 18000131
	s_nop 3                                                    // 000000003EE0: BF800003
	v_mfma_f32_16x16x32_fp8_fp8 v[64:67], a[40:41], v[152:153], v[64:67]// 000000003EE4: D3F30040 0D033128
	v_accvgpr_read_b32 v44, a53                                // 000000003EEC: D3D8402C 18000135
	v_cvt_off_f32_i4_e32 v45, v44                              // 000000003EF4: 7E5A1D2C
	v_cvt_off_f32_i4_sdwa v46, v44 dst_sel:DWORD dst_unused:UNUSED_PRESERVE src0_sel:BYTE_2// 000000003EF8: 7E5C1CF9 0002162C
	v_cvt_pk_fp8_f32 v48, v45, v46                             // 000000003F00: D2A20030 00025D2D
	v_cvt_off_f32_i4_sdwa v45, v44 dst_sel:DWORD dst_unused:UNUSED_PRESERVE src0_sel:BYTE_1// 000000003F08: 7E5A1CF9 0001162C
	v_cvt_off_f32_i4_sdwa v46, v44 dst_sel:DWORD dst_unused:UNUSED_PRESERVE src0_sel:BYTE_3// 000000003F10: 7E5C1CF9 0003162C
	v_cvt_pk_fp8_f32 v49, v45, v46                             // 000000003F18: D2A20031 00025D2D
	v_lshrrev_b32_e32 v47, 4, v44                              // 000000003F20: 205E5884
	v_cvt_off_f32_i4_e32 v45, v47                              // 000000003F24: 7E5A1D2F
	v_cvt_off_f32_i4_sdwa v46, v47 dst_sel:DWORD dst_unused:UNUSED_PRESERVE src0_sel:BYTE_2// 000000003F28: 7E5C1CF9 0002162F
	v_cvt_pk_fp8_f32 v48, v45, v46 op_sel:[0,0,1]              // 000000003F30: D2A24030 00025D2D
	v_cvt_off_f32_i4_sdwa v45, v47 dst_sel:DWORD dst_unused:UNUSED_PRESERVE src0_sel:BYTE_1// 000000003F38: 7E5A1CF9 0001162F
	v_cvt_off_f32_i4_sdwa v46, v47 dst_sel:DWORD dst_unused:UNUSED_PRESERVE src0_sel:BYTE_3// 000000003F40: 7E5C1CF9 0003162F
	v_cvt_pk_fp8_f32 v49, v45, v46 op_sel:[0,0,1]              // 000000003F48: D2A24031 00025D2D
	v_accvgpr_write_b32 a42, v48                               // 000000003F50: D3D9402A 18000130
	v_accvgpr_write_b32 a43, v49                               // 000000003F58: D3D9402B 18000131
	s_nop 3                                                    // 000000003F60: BF800003
	v_mfma_f32_16x16x32_fp8_fp8 v[64:67], a[42:43], v[154:155], v[64:67]// 000000003F64: D3F30040 0D03352A
	v_accvgpr_read_b32 v44, a54                                // 000000003F6C: D3D8402C 18000136
	v_cvt_off_f32_i4_e32 v45, v44                              // 000000003F74: 7E5A1D2C
	v_cvt_off_f32_i4_sdwa v46, v44 dst_sel:DWORD dst_unused:UNUSED_PRESERVE src0_sel:BYTE_2// 000000003F78: 7E5C1CF9 0002162C
	v_cvt_pk_fp8_f32 v48, v45, v46                             // 000000003F80: D2A20030 00025D2D
	v_cvt_off_f32_i4_sdwa v45, v44 dst_sel:DWORD dst_unused:UNUSED_PRESERVE src0_sel:BYTE_1// 000000003F88: 7E5A1CF9 0001162C
	v_cvt_off_f32_i4_sdwa v46, v44 dst_sel:DWORD dst_unused:UNUSED_PRESERVE src0_sel:BYTE_3// 000000003F90: 7E5C1CF9 0003162C
	v_cvt_pk_fp8_f32 v49, v45, v46                             // 000000003F98: D2A20031 00025D2D
	v_lshrrev_b32_e32 v47, 4, v44                              // 000000003FA0: 205E5884
	v_cvt_off_f32_i4_e32 v45, v47                              // 000000003FA4: 7E5A1D2F
	v_cvt_off_f32_i4_sdwa v46, v47 dst_sel:DWORD dst_unused:UNUSED_PRESERVE src0_sel:BYTE_2// 000000003FA8: 7E5C1CF9 0002162F
	v_cvt_pk_fp8_f32 v48, v45, v46 op_sel:[0,0,1]              // 000000003FB0: D2A24030 00025D2D
	v_cvt_off_f32_i4_sdwa v45, v47 dst_sel:DWORD dst_unused:UNUSED_PRESERVE src0_sel:BYTE_1// 000000003FB8: 7E5A1CF9 0001162F
	v_cvt_off_f32_i4_sdwa v46, v47 dst_sel:DWORD dst_unused:UNUSED_PRESERVE src0_sel:BYTE_3// 000000003FC0: 7E5C1CF9 0003162F
	v_cvt_pk_fp8_f32 v49, v45, v46 op_sel:[0,0,1]              // 000000003FC8: D2A24031 00025D2D
	v_accvgpr_write_b32 a44, v48                               // 000000003FD0: D3D9402C 18000130
	v_accvgpr_write_b32 a45, v49                               // 000000003FD8: D3D9402D 18000131
	s_nop 3                                                    // 000000003FE0: BF800003
	v_mfma_f32_16x16x32_fp8_fp8 v[64:67], a[44:45], v[156:157], v[64:67]// 000000003FE4: D3F30040 0D03392C
	v_accvgpr_read_b32 v44, a55                                // 000000003FEC: D3D8402C 18000137
	v_cvt_off_f32_i4_e32 v45, v44                              // 000000003FF4: 7E5A1D2C
	v_cvt_off_f32_i4_sdwa v46, v44 dst_sel:DWORD dst_unused:UNUSED_PRESERVE src0_sel:BYTE_2// 000000003FF8: 7E5C1CF9 0002162C
	v_cvt_pk_fp8_f32 v48, v45, v46                             // 000000004000: D2A20030 00025D2D
	v_cvt_off_f32_i4_sdwa v45, v44 dst_sel:DWORD dst_unused:UNUSED_PRESERVE src0_sel:BYTE_1// 000000004008: 7E5A1CF9 0001162C
	v_cvt_off_f32_i4_sdwa v46, v44 dst_sel:DWORD dst_unused:UNUSED_PRESERVE src0_sel:BYTE_3// 000000004010: 7E5C1CF9 0003162C
	v_cvt_pk_fp8_f32 v49, v45, v46                             // 000000004018: D2A20031 00025D2D
	v_lshrrev_b32_e32 v47, 4, v44                              // 000000004020: 205E5884
	v_cvt_off_f32_i4_e32 v45, v47                              // 000000004024: 7E5A1D2F
	v_cvt_off_f32_i4_sdwa v46, v47 dst_sel:DWORD dst_unused:UNUSED_PRESERVE src0_sel:BYTE_2// 000000004028: 7E5C1CF9 0002162F
	v_cvt_pk_fp8_f32 v48, v45, v46 op_sel:[0,0,1]              // 000000004030: D2A24030 00025D2D
	v_cvt_off_f32_i4_sdwa v45, v47 dst_sel:DWORD dst_unused:UNUSED_PRESERVE src0_sel:BYTE_1// 000000004038: 7E5A1CF9 0001162F
	v_cvt_off_f32_i4_sdwa v46, v47 dst_sel:DWORD dst_unused:UNUSED_PRESERVE src0_sel:BYTE_3// 000000004040: 7E5C1CF9 0003162F
	v_cvt_pk_fp8_f32 v49, v45, v46 op_sel:[0,0,1]              // 000000004048: D2A24031 00025D2D
	v_accvgpr_write_b32 a46, v48                               // 000000004050: D3D9402E 18000130
	v_accvgpr_write_b32 a47, v49                               // 000000004058: D3D9402F 18000131
	s_nop 3                                                    // 000000004060: BF800003
	v_mfma_f32_16x16x32_fp8_fp8 v[64:67], a[46:47], v[158:159], v[64:67]// 000000004064: D3F30040 0D033D2E
	ds_read_b128 v[180:183], v2 offset:8336                    // 00000000406C: D9FE2090 B4000002
	v_mfma_f32_16x16x32_fp8_fp8 v[68:71], a[32:33], v[160:161], v[68:71]// 000000004074: D3F30044 0D134120
	v_mfma_f32_16x16x32_fp8_fp8 v[68:71], a[34:35], v[162:163], v[68:71]// 00000000407C: D3F30044 0D134522
	buffer_load_dwordx4 a[20:23], v32, s[24:27], 0 offen offset:1024// 000000004084: E05C1400 80861420
	v_mfma_f32_16x16x32_fp8_fp8 v[68:71], a[36:37], v[164:165], v[68:71]// 00000000408C: D3F30044 0D134924
	v_mfma_f32_16x16x32_fp8_fp8 v[68:71], a[38:39], v[166:167], v[68:71]// 000000004094: D3F30044 0D134D26
	ds_read_b128 v[184:187], v2 offset:8448                    // 00000000409C: D9FE2100 B8000002
	v_mfma_f32_16x16x32_fp8_fp8 v[68:71], a[40:41], v[168:169], v[68:71]// 0000000040A4: D3F30044 0D135128
	v_mfma_f32_16x16x32_fp8_fp8 v[68:71], a[42:43], v[170:171], v[68:71]// 0000000040AC: D3F30044 0D13552A
	v_mfma_f32_16x16x32_fp8_fp8 v[68:71], a[44:45], v[172:173], v[68:71]// 0000000040B4: D3F30044 0D13592C
	v_mfma_f32_16x16x32_fp8_fp8 v[68:71], a[46:47], v[174:175], v[68:71]// 0000000040BC: D3F30044 0D135D2E
	ds_read_b128 v[188:191], v2 offset:8464                    // 0000000040C4: D9FE2110 BC000002
	v_accvgpr_read_b32 v44, a56                                // 0000000040CC: D3D8402C 18000138
	v_cvt_off_f32_i4_e32 v45, v44                              // 0000000040D4: 7E5A1D2C
	v_cvt_off_f32_i4_sdwa v46, v44 dst_sel:DWORD dst_unused:UNUSED_PRESERVE src0_sel:BYTE_2// 0000000040D8: 7E5C1CF9 0002162C
	v_cvt_pk_fp8_f32 v48, v45, v46                             // 0000000040E0: D2A20030 00025D2D
	v_cvt_off_f32_i4_sdwa v45, v44 dst_sel:DWORD dst_unused:UNUSED_PRESERVE src0_sel:BYTE_1// 0000000040E8: 7E5A1CF9 0001162C
	v_cvt_off_f32_i4_sdwa v46, v44 dst_sel:DWORD dst_unused:UNUSED_PRESERVE src0_sel:BYTE_3// 0000000040F0: 7E5C1CF9 0003162C
	v_cvt_pk_fp8_f32 v49, v45, v46                             // 0000000040F8: D2A20031 00025D2D
	v_lshrrev_b32_e32 v47, 4, v44                              // 000000004100: 205E5884
	v_cvt_off_f32_i4_e32 v45, v47                              // 000000004104: 7E5A1D2F
	v_cvt_off_f32_i4_sdwa v46, v47 dst_sel:DWORD dst_unused:UNUSED_PRESERVE src0_sel:BYTE_2// 000000004108: 7E5C1CF9 0002162F
	v_cvt_pk_fp8_f32 v48, v45, v46 op_sel:[0,0,1]              // 000000004110: D2A24030 00025D2D
	v_cvt_off_f32_i4_sdwa v45, v47 dst_sel:DWORD dst_unused:UNUSED_PRESERVE src0_sel:BYTE_1// 000000004118: 7E5A1CF9 0001162F
	v_cvt_off_f32_i4_sdwa v46, v47 dst_sel:DWORD dst_unused:UNUSED_PRESERVE src0_sel:BYTE_3// 000000004120: 7E5C1CF9 0003162F
	v_cvt_pk_fp8_f32 v49, v45, v46 op_sel:[0,0,1]              // 000000004128: D2A24031 00025D2D
	v_accvgpr_write_b32 a48, v48                               // 000000004130: D3D94030 18000130
	v_accvgpr_write_b32 a49, v49                               // 000000004138: D3D94031 18000131
	s_nop 3                                                    // 000000004140: BF800003
	v_mfma_f32_16x16x32_fp8_fp8 v[72:75], a[48:49], v[144:145], v[72:75]// 000000004144: D3F30048 0D232130
	v_accvgpr_read_b32 v44, a57                                // 00000000414C: D3D8402C 18000139
	v_cvt_off_f32_i4_e32 v45, v44                              // 000000004154: 7E5A1D2C
	v_cvt_off_f32_i4_sdwa v46, v44 dst_sel:DWORD dst_unused:UNUSED_PRESERVE src0_sel:BYTE_2// 000000004158: 7E5C1CF9 0002162C
	v_cvt_pk_fp8_f32 v48, v45, v46                             // 000000004160: D2A20030 00025D2D
	v_cvt_off_f32_i4_sdwa v45, v44 dst_sel:DWORD dst_unused:UNUSED_PRESERVE src0_sel:BYTE_1// 000000004168: 7E5A1CF9 0001162C
	v_cvt_off_f32_i4_sdwa v46, v44 dst_sel:DWORD dst_unused:UNUSED_PRESERVE src0_sel:BYTE_3// 000000004170: 7E5C1CF9 0003162C
	v_cvt_pk_fp8_f32 v49, v45, v46                             // 000000004178: D2A20031 00025D2D
	v_lshrrev_b32_e32 v47, 4, v44                              // 000000004180: 205E5884
	v_cvt_off_f32_i4_e32 v45, v47                              // 000000004184: 7E5A1D2F
	v_cvt_off_f32_i4_sdwa v46, v47 dst_sel:DWORD dst_unused:UNUSED_PRESERVE src0_sel:BYTE_2// 000000004188: 7E5C1CF9 0002162F
	v_cvt_pk_fp8_f32 v48, v45, v46 op_sel:[0,0,1]              // 000000004190: D2A24030 00025D2D
	v_cvt_off_f32_i4_sdwa v45, v47 dst_sel:DWORD dst_unused:UNUSED_PRESERVE src0_sel:BYTE_1// 000000004198: 7E5A1CF9 0001162F
	v_cvt_off_f32_i4_sdwa v46, v47 dst_sel:DWORD dst_unused:UNUSED_PRESERVE src0_sel:BYTE_3// 0000000041A0: 7E5C1CF9 0003162F
	v_cvt_pk_fp8_f32 v49, v45, v46 op_sel:[0,0,1]              // 0000000041A8: D2A24031 00025D2D
	v_accvgpr_write_b32 a50, v48                               // 0000000041B0: D3D94032 18000130
	v_accvgpr_write_b32 a51, v49                               // 0000000041B8: D3D94033 18000131
	s_nop 3                                                    // 0000000041C0: BF800003
	v_mfma_f32_16x16x32_fp8_fp8 v[72:75], a[50:51], v[146:147], v[72:75]// 0000000041C4: D3F30048 0D232532
	buffer_load_dwordx4 a[24:27], v33, s[24:27], 0 offen       // 0000000041CC: E05C1000 80861821
	v_accvgpr_read_b32 v44, a58                                // 0000000041D4: D3D8402C 1800013A
	v_cvt_off_f32_i4_e32 v45, v44                              // 0000000041DC: 7E5A1D2C
	v_cvt_off_f32_i4_sdwa v46, v44 dst_sel:DWORD dst_unused:UNUSED_PRESERVE src0_sel:BYTE_2// 0000000041E0: 7E5C1CF9 0002162C
	v_cvt_pk_fp8_f32 v48, v45, v46                             // 0000000041E8: D2A20030 00025D2D
	v_cvt_off_f32_i4_sdwa v45, v44 dst_sel:DWORD dst_unused:UNUSED_PRESERVE src0_sel:BYTE_1// 0000000041F0: 7E5A1CF9 0001162C
	v_cvt_off_f32_i4_sdwa v46, v44 dst_sel:DWORD dst_unused:UNUSED_PRESERVE src0_sel:BYTE_3// 0000000041F8: 7E5C1CF9 0003162C
	v_cvt_pk_fp8_f32 v49, v45, v46                             // 000000004200: D2A20031 00025D2D
	v_lshrrev_b32_e32 v47, 4, v44                              // 000000004208: 205E5884
	v_cvt_off_f32_i4_e32 v45, v47                              // 00000000420C: 7E5A1D2F
	v_cvt_off_f32_i4_sdwa v46, v47 dst_sel:DWORD dst_unused:UNUSED_PRESERVE src0_sel:BYTE_2// 000000004210: 7E5C1CF9 0002162F
	v_cvt_pk_fp8_f32 v48, v45, v46 op_sel:[0,0,1]              // 000000004218: D2A24030 00025D2D
	v_cvt_off_f32_i4_sdwa v45, v47 dst_sel:DWORD dst_unused:UNUSED_PRESERVE src0_sel:BYTE_1// 000000004220: 7E5A1CF9 0001162F
	v_cvt_off_f32_i4_sdwa v46, v47 dst_sel:DWORD dst_unused:UNUSED_PRESERVE src0_sel:BYTE_3// 000000004228: 7E5C1CF9 0003162F
	v_cvt_pk_fp8_f32 v49, v45, v46 op_sel:[0,0,1]              // 000000004230: D2A24031 00025D2D
	v_accvgpr_write_b32 a52, v48                               // 000000004238: D3D94034 18000130
	v_accvgpr_write_b32 a53, v49                               // 000000004240: D3D94035 18000131
	s_nop 3                                                    // 000000004248: BF800003
	v_mfma_f32_16x16x32_fp8_fp8 v[72:75], a[52:53], v[148:149], v[72:75]// 00000000424C: D3F30048 0D232934
	v_accvgpr_read_b32 v44, a59                                // 000000004254: D3D8402C 1800013B
	v_cvt_off_f32_i4_e32 v45, v44                              // 00000000425C: 7E5A1D2C
	v_cvt_off_f32_i4_sdwa v46, v44 dst_sel:DWORD dst_unused:UNUSED_PRESERVE src0_sel:BYTE_2// 000000004260: 7E5C1CF9 0002162C
	v_cvt_pk_fp8_f32 v48, v45, v46                             // 000000004268: D2A20030 00025D2D
	v_cvt_off_f32_i4_sdwa v45, v44 dst_sel:DWORD dst_unused:UNUSED_PRESERVE src0_sel:BYTE_1// 000000004270: 7E5A1CF9 0001162C
	v_cvt_off_f32_i4_sdwa v46, v44 dst_sel:DWORD dst_unused:UNUSED_PRESERVE src0_sel:BYTE_3// 000000004278: 7E5C1CF9 0003162C
	v_cvt_pk_fp8_f32 v49, v45, v46                             // 000000004280: D2A20031 00025D2D
	v_lshrrev_b32_e32 v47, 4, v44                              // 000000004288: 205E5884
	v_cvt_off_f32_i4_e32 v45, v47                              // 00000000428C: 7E5A1D2F
	v_cvt_off_f32_i4_sdwa v46, v47 dst_sel:DWORD dst_unused:UNUSED_PRESERVE src0_sel:BYTE_2// 000000004290: 7E5C1CF9 0002162F
	v_cvt_pk_fp8_f32 v48, v45, v46 op_sel:[0,0,1]              // 000000004298: D2A24030 00025D2D
	v_cvt_off_f32_i4_sdwa v45, v47 dst_sel:DWORD dst_unused:UNUSED_PRESERVE src0_sel:BYTE_1// 0000000042A0: 7E5A1CF9 0001162F
	v_cvt_off_f32_i4_sdwa v46, v47 dst_sel:DWORD dst_unused:UNUSED_PRESERVE src0_sel:BYTE_3// 0000000042A8: 7E5C1CF9 0003162F
	v_cvt_pk_fp8_f32 v49, v45, v46 op_sel:[0,0,1]              // 0000000042B0: D2A24031 00025D2D
	v_accvgpr_write_b32 a54, v48                               // 0000000042B8: D3D94036 18000130
	v_accvgpr_write_b32 a55, v49                               // 0000000042C0: D3D94037 18000131
	s_nop 3                                                    // 0000000042C8: BF800003
	v_mfma_f32_16x16x32_fp8_fp8 v[72:75], a[54:55], v[150:151], v[72:75]// 0000000042CC: D3F30048 0D232D36
	ds_read_b128 v[192:195], v2 offset:9344                    // 0000000042D4: D9FE2480 C0000002
	v_accvgpr_read_b32 v44, a60                                // 0000000042DC: D3D8402C 1800013C
	v_cvt_off_f32_i4_e32 v45, v44                              // 0000000042E4: 7E5A1D2C
	v_cvt_off_f32_i4_sdwa v46, v44 dst_sel:DWORD dst_unused:UNUSED_PRESERVE src0_sel:BYTE_2// 0000000042E8: 7E5C1CF9 0002162C
	v_cvt_pk_fp8_f32 v48, v45, v46                             // 0000000042F0: D2A20030 00025D2D
	v_cvt_off_f32_i4_sdwa v45, v44 dst_sel:DWORD dst_unused:UNUSED_PRESERVE src0_sel:BYTE_1// 0000000042F8: 7E5A1CF9 0001162C
	v_cvt_off_f32_i4_sdwa v46, v44 dst_sel:DWORD dst_unused:UNUSED_PRESERVE src0_sel:BYTE_3// 000000004300: 7E5C1CF9 0003162C
	v_cvt_pk_fp8_f32 v49, v45, v46                             // 000000004308: D2A20031 00025D2D
	v_lshrrev_b32_e32 v47, 4, v44                              // 000000004310: 205E5884
	v_cvt_off_f32_i4_e32 v45, v47                              // 000000004314: 7E5A1D2F
	v_cvt_off_f32_i4_sdwa v46, v47 dst_sel:DWORD dst_unused:UNUSED_PRESERVE src0_sel:BYTE_2// 000000004318: 7E5C1CF9 0002162F
	v_cvt_pk_fp8_f32 v48, v45, v46 op_sel:[0,0,1]              // 000000004320: D2A24030 00025D2D
	v_cvt_off_f32_i4_sdwa v45, v47 dst_sel:DWORD dst_unused:UNUSED_PRESERVE src0_sel:BYTE_1// 000000004328: 7E5A1CF9 0001162F
	v_cvt_off_f32_i4_sdwa v46, v47 dst_sel:DWORD dst_unused:UNUSED_PRESERVE src0_sel:BYTE_3// 000000004330: 7E5C1CF9 0003162F
	v_cvt_pk_fp8_f32 v49, v45, v46 op_sel:[0,0,1]              // 000000004338: D2A24031 00025D2D
	v_accvgpr_write_b32 a56, v48                               // 000000004340: D3D94038 18000130
	v_accvgpr_write_b32 a57, v49                               // 000000004348: D3D94039 18000131
	s_nop 3                                                    // 000000004350: BF800003
	v_mfma_f32_16x16x32_fp8_fp8 v[72:75], a[56:57], v[152:153], v[72:75]// 000000004354: D3F30048 0D233138
	v_accvgpr_read_b32 v44, a61                                // 00000000435C: D3D8402C 1800013D
	v_cvt_off_f32_i4_e32 v45, v44                              // 000000004364: 7E5A1D2C
	v_cvt_off_f32_i4_sdwa v46, v44 dst_sel:DWORD dst_unused:UNUSED_PRESERVE src0_sel:BYTE_2// 000000004368: 7E5C1CF9 0002162C
	v_cvt_pk_fp8_f32 v48, v45, v46                             // 000000004370: D2A20030 00025D2D
	v_cvt_off_f32_i4_sdwa v45, v44 dst_sel:DWORD dst_unused:UNUSED_PRESERVE src0_sel:BYTE_1// 000000004378: 7E5A1CF9 0001162C
	v_cvt_off_f32_i4_sdwa v46, v44 dst_sel:DWORD dst_unused:UNUSED_PRESERVE src0_sel:BYTE_3// 000000004380: 7E5C1CF9 0003162C
	v_cvt_pk_fp8_f32 v49, v45, v46                             // 000000004388: D2A20031 00025D2D
	v_lshrrev_b32_e32 v47, 4, v44                              // 000000004390: 205E5884
	v_cvt_off_f32_i4_e32 v45, v47                              // 000000004394: 7E5A1D2F
	v_cvt_off_f32_i4_sdwa v46, v47 dst_sel:DWORD dst_unused:UNUSED_PRESERVE src0_sel:BYTE_2// 000000004398: 7E5C1CF9 0002162F
	v_cvt_pk_fp8_f32 v48, v45, v46 op_sel:[0,0,1]              // 0000000043A0: D2A24030 00025D2D
	v_cvt_off_f32_i4_sdwa v45, v47 dst_sel:DWORD dst_unused:UNUSED_PRESERVE src0_sel:BYTE_1// 0000000043A8: 7E5A1CF9 0001162F
	v_cvt_off_f32_i4_sdwa v46, v47 dst_sel:DWORD dst_unused:UNUSED_PRESERVE src0_sel:BYTE_3// 0000000043B0: 7E5C1CF9 0003162F
	v_cvt_pk_fp8_f32 v49, v45, v46 op_sel:[0,0,1]              // 0000000043B8: D2A24031 00025D2D
	v_accvgpr_write_b32 a58, v48                               // 0000000043C0: D3D9403A 18000130
	v_accvgpr_write_b32 a59, v49                               // 0000000043C8: D3D9403B 18000131
	s_nop 3                                                    // 0000000043D0: BF800003
	v_mfma_f32_16x16x32_fp8_fp8 v[72:75], a[58:59], v[154:155], v[72:75]// 0000000043D4: D3F30048 0D23353A
	v_accvgpr_read_b32 v44, a62                                // 0000000043DC: D3D8402C 1800013E
	v_cvt_off_f32_i4_e32 v45, v44                              // 0000000043E4: 7E5A1D2C
	v_cvt_off_f32_i4_sdwa v46, v44 dst_sel:DWORD dst_unused:UNUSED_PRESERVE src0_sel:BYTE_2// 0000000043E8: 7E5C1CF9 0002162C
	v_cvt_pk_fp8_f32 v48, v45, v46                             // 0000000043F0: D2A20030 00025D2D
	v_cvt_off_f32_i4_sdwa v45, v44 dst_sel:DWORD dst_unused:UNUSED_PRESERVE src0_sel:BYTE_1// 0000000043F8: 7E5A1CF9 0001162C
	v_cvt_off_f32_i4_sdwa v46, v44 dst_sel:DWORD dst_unused:UNUSED_PRESERVE src0_sel:BYTE_3// 000000004400: 7E5C1CF9 0003162C
	v_cvt_pk_fp8_f32 v49, v45, v46                             // 000000004408: D2A20031 00025D2D
	v_lshrrev_b32_e32 v47, 4, v44                              // 000000004410: 205E5884
	v_cvt_off_f32_i4_e32 v45, v47                              // 000000004414: 7E5A1D2F
	v_cvt_off_f32_i4_sdwa v46, v47 dst_sel:DWORD dst_unused:UNUSED_PRESERVE src0_sel:BYTE_2// 000000004418: 7E5C1CF9 0002162F
	v_cvt_pk_fp8_f32 v48, v45, v46 op_sel:[0,0,1]              // 000000004420: D2A24030 00025D2D
	v_cvt_off_f32_i4_sdwa v45, v47 dst_sel:DWORD dst_unused:UNUSED_PRESERVE src0_sel:BYTE_1// 000000004428: 7E5A1CF9 0001162F
	v_cvt_off_f32_i4_sdwa v46, v47 dst_sel:DWORD dst_unused:UNUSED_PRESERVE src0_sel:BYTE_3// 000000004430: 7E5C1CF9 0003162F
	v_cvt_pk_fp8_f32 v49, v45, v46 op_sel:[0,0,1]              // 000000004438: D2A24031 00025D2D
	v_accvgpr_write_b32 a60, v48                               // 000000004440: D3D9403C 18000130
	v_accvgpr_write_b32 a61, v49                               // 000000004448: D3D9403D 18000131
	s_nop 3                                                    // 000000004450: BF800003
	v_mfma_f32_16x16x32_fp8_fp8 v[72:75], a[60:61], v[156:157], v[72:75]// 000000004454: D3F30048 0D23393C
	v_accvgpr_read_b32 v44, a63                                // 00000000445C: D3D8402C 1800013F
	v_cvt_off_f32_i4_e32 v45, v44                              // 000000004464: 7E5A1D2C
	v_cvt_off_f32_i4_sdwa v46, v44 dst_sel:DWORD dst_unused:UNUSED_PRESERVE src0_sel:BYTE_2// 000000004468: 7E5C1CF9 0002162C
	v_cvt_pk_fp8_f32 v48, v45, v46                             // 000000004470: D2A20030 00025D2D
	v_cvt_off_f32_i4_sdwa v45, v44 dst_sel:DWORD dst_unused:UNUSED_PRESERVE src0_sel:BYTE_1// 000000004478: 7E5A1CF9 0001162C
	v_cvt_off_f32_i4_sdwa v46, v44 dst_sel:DWORD dst_unused:UNUSED_PRESERVE src0_sel:BYTE_3// 000000004480: 7E5C1CF9 0003162C
	v_cvt_pk_fp8_f32 v49, v45, v46                             // 000000004488: D2A20031 00025D2D
	v_lshrrev_b32_e32 v47, 4, v44                              // 000000004490: 205E5884
	v_cvt_off_f32_i4_e32 v45, v47                              // 000000004494: 7E5A1D2F
	v_cvt_off_f32_i4_sdwa v46, v47 dst_sel:DWORD dst_unused:UNUSED_PRESERVE src0_sel:BYTE_2// 000000004498: 7E5C1CF9 0002162F
	v_cvt_pk_fp8_f32 v48, v45, v46 op_sel:[0,0,1]              // 0000000044A0: D2A24030 00025D2D
	v_cvt_off_f32_i4_sdwa v45, v47 dst_sel:DWORD dst_unused:UNUSED_PRESERVE src0_sel:BYTE_1// 0000000044A8: 7E5A1CF9 0001162F
	v_cvt_off_f32_i4_sdwa v46, v47 dst_sel:DWORD dst_unused:UNUSED_PRESERVE src0_sel:BYTE_3// 0000000044B0: 7E5C1CF9 0003162F
	v_cvt_pk_fp8_f32 v49, v45, v46 op_sel:[0,0,1]              // 0000000044B8: D2A24031 00025D2D
	v_accvgpr_write_b32 a62, v48                               // 0000000044C0: D3D9403E 18000130
	v_accvgpr_write_b32 a63, v49                               // 0000000044C8: D3D9403F 18000131
	s_nop 3                                                    // 0000000044D0: BF800003
	v_mfma_f32_16x16x32_fp8_fp8 v[72:75], a[62:63], v[158:159], v[72:75]// 0000000044D4: D3F30048 0D233D3E
	ds_read_b128 v[196:199], v2 offset:9360                    // 0000000044DC: D9FE2490 C4000002
	v_mfma_f32_16x16x32_fp8_fp8 v[76:79], a[48:49], v[160:161], v[76:79]// 0000000044E4: D3F3004C 0D334130
	v_mfma_f32_16x16x32_fp8_fp8 v[76:79], a[50:51], v[162:163], v[76:79]// 0000000044EC: D3F3004C 0D334532
	buffer_load_dwordx4 a[28:31], v33, s[24:27], 0 offen offset:1024// 0000000044F4: E05C1400 80861C21
	v_mfma_f32_16x16x32_fp8_fp8 v[76:79], a[52:53], v[164:165], v[76:79]// 0000000044FC: D3F3004C 0D334934
	v_mfma_f32_16x16x32_fp8_fp8 v[76:79], a[54:55], v[166:167], v[76:79]// 000000004504: D3F3004C 0D334D36
	ds_read_b128 v[200:203], v2 offset:9472                    // 00000000450C: D9FE2500 C8000002
	v_mfma_f32_16x16x32_fp8_fp8 v[76:79], a[56:57], v[168:169], v[76:79]// 000000004514: D3F3004C 0D335138
	v_mfma_f32_16x16x32_fp8_fp8 v[76:79], a[58:59], v[170:171], v[76:79]// 00000000451C: D3F3004C 0D33553A
	v_mfma_f32_16x16x32_fp8_fp8 v[76:79], a[60:61], v[172:173], v[76:79]// 000000004524: D3F3004C 0D33593C
	v_mfma_f32_16x16x32_fp8_fp8 v[76:79], a[62:63], v[174:175], v[76:79]// 00000000452C: D3F3004C 0D335D3E
	ds_read_b128 v[204:207], v2 offset:9488                    // 000000004534: D9FE2510 CC000002
	s_add_u32 s60, 0x200, s80                                  // 00000000453C: 803C50FF 00000200
	s_cmp_lt_u32 s60, s81                                      // 000000004544: BF0A513C
	s_cselect_b32 s57, s57, 0                                  // 000000004548: 85398039
	s_add_u32 s60, 0x200, s80                                  // 00000000454C: 803C50FF 00000200
	s_cmp_lt_u32 s60, s81                                      // 000000004554: BF0A513C
	s_cselect_b32 s58, s58, 0                                  // 000000004558: 853A803A
	s_add_u32 s20, s57, s20                                    // 00000000455C: 80141439
	s_addc_u32 s21, 0, s21                                     // 000000004560: 82151580
	s_add_u32 s24, s58, s24                                    // 000000004564: 8018183A
	s_addc_u32 s25, 0, s25                                     // 000000004568: 82191980
	s_add_u32 s92, s90, s92                                    // 00000000456C: 805C5C5A
	s_addc_u32 s93, 0, s93                                     // 000000004570: 825D5D80
	s_addk_i32 s80, 0x100                                      // 000000004574: B7500100
	s_cmp_lt_i32 s80, s81                                      // 000000004578: BF045150
	s_cbranch_scc0 label_0B35                                  // 00000000457C: BF840495
	s_waitcnt vmcnt(0) lgkmcnt(0)                              // 000000004580: BF8C0070
	s_barrier                                                  // 000000004584: BF8A0000
	v_accvgpr_read_b32 v44, a16                                // 000000004588: D3D8402C 18000110
	v_cvt_off_f32_i4_e32 v45, v44                              // 000000004590: 7E5A1D2C
	v_cvt_off_f32_i4_sdwa v46, v44 dst_sel:DWORD dst_unused:UNUSED_PRESERVE src0_sel:BYTE_2// 000000004594: 7E5C1CF9 0002162C
	v_cvt_pk_fp8_f32 v48, v45, v46                             // 00000000459C: D2A20030 00025D2D
	v_cvt_off_f32_i4_sdwa v45, v44 dst_sel:DWORD dst_unused:UNUSED_PRESERVE src0_sel:BYTE_1// 0000000045A4: 7E5A1CF9 0001162C
	v_cvt_off_f32_i4_sdwa v46, v44 dst_sel:DWORD dst_unused:UNUSED_PRESERVE src0_sel:BYTE_3// 0000000045AC: 7E5C1CF9 0003162C
	v_cvt_pk_fp8_f32 v49, v45, v46                             // 0000000045B4: D2A20031 00025D2D
	v_lshrrev_b32_e32 v47, 4, v44                              // 0000000045BC: 205E5884
	v_cvt_off_f32_i4_e32 v45, v47                              // 0000000045C0: 7E5A1D2F
	v_cvt_off_f32_i4_sdwa v46, v47 dst_sel:DWORD dst_unused:UNUSED_PRESERVE src0_sel:BYTE_2// 0000000045C4: 7E5C1CF9 0002162F
	v_cvt_pk_fp8_f32 v48, v45, v46 op_sel:[0,0,1]              // 0000000045CC: D2A24030 00025D2D
	v_cvt_off_f32_i4_sdwa v45, v47 dst_sel:DWORD dst_unused:UNUSED_PRESERVE src0_sel:BYTE_1// 0000000045D4: 7E5A1CF9 0001162F
	v_cvt_off_f32_i4_sdwa v46, v47 dst_sel:DWORD dst_unused:UNUSED_PRESERVE src0_sel:BYTE_3// 0000000045DC: 7E5C1CF9 0003162F
	v_cvt_pk_fp8_f32 v49, v45, v46 op_sel:[0,0,1]              // 0000000045E4: D2A24031 00025D2D
	v_accvgpr_write_b32 a0, v48                                // 0000000045EC: D3D94000 18000130
	v_accvgpr_write_b32 a1, v49                                // 0000000045F4: D3D94001 18000131
	s_nop 3                                                    // 0000000045FC: BF800003
	v_mfma_f32_16x16x32_fp8_fp8 v[128:131], a[0:1], v[176:177], v[128:131]// 000000004600: D3F30080 0E036100
	v_accvgpr_read_b32 v44, a17                                // 000000004608: D3D8402C 18000111
	v_cvt_off_f32_i4_e32 v45, v44                              // 000000004610: 7E5A1D2C
	v_cvt_off_f32_i4_sdwa v46, v44 dst_sel:DWORD dst_unused:UNUSED_PRESERVE src0_sel:BYTE_2// 000000004614: 7E5C1CF9 0002162C
	v_cvt_pk_fp8_f32 v48, v45, v46                             // 00000000461C: D2A20030 00025D2D
	v_cvt_off_f32_i4_sdwa v45, v44 dst_sel:DWORD dst_unused:UNUSED_PRESERVE src0_sel:BYTE_1// 000000004624: 7E5A1CF9 0001162C
	v_cvt_off_f32_i4_sdwa v46, v44 dst_sel:DWORD dst_unused:UNUSED_PRESERVE src0_sel:BYTE_3// 00000000462C: 7E5C1CF9 0003162C
	v_cvt_pk_fp8_f32 v49, v45, v46                             // 000000004634: D2A20031 00025D2D
	v_lshrrev_b32_e32 v47, 4, v44                              // 00000000463C: 205E5884
	v_cvt_off_f32_i4_e32 v45, v47                              // 000000004640: 7E5A1D2F
	v_cvt_off_f32_i4_sdwa v46, v47 dst_sel:DWORD dst_unused:UNUSED_PRESERVE src0_sel:BYTE_2// 000000004644: 7E5C1CF9 0002162F
	v_cvt_pk_fp8_f32 v48, v45, v46 op_sel:[0,0,1]              // 00000000464C: D2A24030 00025D2D
	v_cvt_off_f32_i4_sdwa v45, v47 dst_sel:DWORD dst_unused:UNUSED_PRESERVE src0_sel:BYTE_1// 000000004654: 7E5A1CF9 0001162F
	v_cvt_off_f32_i4_sdwa v46, v47 dst_sel:DWORD dst_unused:UNUSED_PRESERVE src0_sel:BYTE_3// 00000000465C: 7E5C1CF9 0003162F
	v_cvt_pk_fp8_f32 v49, v45, v46 op_sel:[0,0,1]              // 000000004664: D2A24031 00025D2D
	v_accvgpr_write_b32 a2, v48                                // 00000000466C: D3D94002 18000130
	v_accvgpr_write_b32 a3, v49                                // 000000004674: D3D94003 18000131
	s_nop 3                                                    // 00000000467C: BF800003
	v_mfma_f32_16x16x32_fp8_fp8 v[128:131], a[2:3], v[178:179], v[128:131]// 000000004680: D3F30080 0E036502
	buffer_load_dwordx4 a[48:51], v32, s[92:95], 0 offen       // 000000004688: E05C1000 80973020
	v_accvgpr_read_b32 v44, a18                                // 000000004690: D3D8402C 18000112
	v_cvt_off_f32_i4_e32 v45, v44                              // 000000004698: 7E5A1D2C
	v_cvt_off_f32_i4_sdwa v46, v44 dst_sel:DWORD dst_unused:UNUSED_PRESERVE src0_sel:BYTE_2// 00000000469C: 7E5C1CF9 0002162C
	v_cvt_pk_fp8_f32 v48, v45, v46                             // 0000000046A4: D2A20030 00025D2D
	v_cvt_off_f32_i4_sdwa v45, v44 dst_sel:DWORD dst_unused:UNUSED_PRESERVE src0_sel:BYTE_1// 0000000046AC: 7E5A1CF9 0001162C
	v_cvt_off_f32_i4_sdwa v46, v44 dst_sel:DWORD dst_unused:UNUSED_PRESERVE src0_sel:BYTE_3// 0000000046B4: 7E5C1CF9 0003162C
	v_cvt_pk_fp8_f32 v49, v45, v46                             // 0000000046BC: D2A20031 00025D2D
	v_lshrrev_b32_e32 v47, 4, v44                              // 0000000046C4: 205E5884
	v_cvt_off_f32_i4_e32 v45, v47                              // 0000000046C8: 7E5A1D2F
	v_cvt_off_f32_i4_sdwa v46, v47 dst_sel:DWORD dst_unused:UNUSED_PRESERVE src0_sel:BYTE_2// 0000000046CC: 7E5C1CF9 0002162F
	v_cvt_pk_fp8_f32 v48, v45, v46 op_sel:[0,0,1]              // 0000000046D4: D2A24030 00025D2D
	v_cvt_off_f32_i4_sdwa v45, v47 dst_sel:DWORD dst_unused:UNUSED_PRESERVE src0_sel:BYTE_1// 0000000046DC: 7E5A1CF9 0001162F
	v_cvt_off_f32_i4_sdwa v46, v47 dst_sel:DWORD dst_unused:UNUSED_PRESERVE src0_sel:BYTE_3// 0000000046E4: 7E5C1CF9 0003162F
	v_cvt_pk_fp8_f32 v49, v45, v46 op_sel:[0,0,1]              // 0000000046EC: D2A24031 00025D2D
	v_accvgpr_write_b32 a4, v48                                // 0000000046F4: D3D94004 18000130
	v_accvgpr_write_b32 a5, v49                                // 0000000046FC: D3D94005 18000131
	s_nop 3                                                    // 000000004704: BF800003
	v_mfma_f32_16x16x32_fp8_fp8 v[128:131], a[4:5], v[180:181], v[128:131]// 000000004708: D3F30080 0E036904
	v_accvgpr_read_b32 v44, a19                                // 000000004710: D3D8402C 18000113
	v_cvt_off_f32_i4_e32 v45, v44                              // 000000004718: 7E5A1D2C
	v_cvt_off_f32_i4_sdwa v46, v44 dst_sel:DWORD dst_unused:UNUSED_PRESERVE src0_sel:BYTE_2// 00000000471C: 7E5C1CF9 0002162C
	v_cvt_pk_fp8_f32 v48, v45, v46                             // 000000004724: D2A20030 00025D2D
	v_cvt_off_f32_i4_sdwa v45, v44 dst_sel:DWORD dst_unused:UNUSED_PRESERVE src0_sel:BYTE_1// 00000000472C: 7E5A1CF9 0001162C
	v_cvt_off_f32_i4_sdwa v46, v44 dst_sel:DWORD dst_unused:UNUSED_PRESERVE src0_sel:BYTE_3// 000000004734: 7E5C1CF9 0003162C
	v_cvt_pk_fp8_f32 v49, v45, v46                             // 00000000473C: D2A20031 00025D2D
	v_lshrrev_b32_e32 v47, 4, v44                              // 000000004744: 205E5884
	v_cvt_off_f32_i4_e32 v45, v47                              // 000000004748: 7E5A1D2F
	v_cvt_off_f32_i4_sdwa v46, v47 dst_sel:DWORD dst_unused:UNUSED_PRESERVE src0_sel:BYTE_2// 00000000474C: 7E5C1CF9 0002162F
	v_cvt_pk_fp8_f32 v48, v45, v46 op_sel:[0,0,1]              // 000000004754: D2A24030 00025D2D
	v_cvt_off_f32_i4_sdwa v45, v47 dst_sel:DWORD dst_unused:UNUSED_PRESERVE src0_sel:BYTE_1// 00000000475C: 7E5A1CF9 0001162F
	v_cvt_off_f32_i4_sdwa v46, v47 dst_sel:DWORD dst_unused:UNUSED_PRESERVE src0_sel:BYTE_3// 000000004764: 7E5C1CF9 0003162F
	v_cvt_pk_fp8_f32 v49, v45, v46 op_sel:[0,0,1]              // 00000000476C: D2A24031 00025D2D
	v_accvgpr_write_b32 a6, v48                                // 000000004774: D3D94006 18000130
	v_accvgpr_write_b32 a7, v49                                // 00000000477C: D3D94007 18000131
	s_nop 3                                                    // 000000004784: BF800003
	v_mfma_f32_16x16x32_fp8_fp8 v[128:131], a[6:7], v[182:183], v[128:131]// 000000004788: D3F30080 0E036D06
	buffer_load_dword v24, s[20:23], 0 offen lds               // 000000004790: E0511000 80050018
	s_add_u32 m0, 0x100, s50                                   // 000000004798: 807C32FF 00000100
	v_accvgpr_read_b32 v44, a20                                // 0000000047A0: D3D8402C 18000114
	v_cvt_off_f32_i4_e32 v45, v44                              // 0000000047A8: 7E5A1D2C
	v_cvt_off_f32_i4_sdwa v46, v44 dst_sel:DWORD dst_unused:UNUSED_PRESERVE src0_sel:BYTE_2// 0000000047AC: 7E5C1CF9 0002162C
	v_cvt_pk_fp8_f32 v48, v45, v46                             // 0000000047B4: D2A20030 00025D2D
	v_cvt_off_f32_i4_sdwa v45, v44 dst_sel:DWORD dst_unused:UNUSED_PRESERVE src0_sel:BYTE_1// 0000000047BC: 7E5A1CF9 0001162C
	v_cvt_off_f32_i4_sdwa v46, v44 dst_sel:DWORD dst_unused:UNUSED_PRESERVE src0_sel:BYTE_3// 0000000047C4: 7E5C1CF9 0003162C
	v_cvt_pk_fp8_f32 v49, v45, v46                             // 0000000047CC: D2A20031 00025D2D
	v_lshrrev_b32_e32 v47, 4, v44                              // 0000000047D4: 205E5884
	v_cvt_off_f32_i4_e32 v45, v47                              // 0000000047D8: 7E5A1D2F
	v_cvt_off_f32_i4_sdwa v46, v47 dst_sel:DWORD dst_unused:UNUSED_PRESERVE src0_sel:BYTE_2// 0000000047DC: 7E5C1CF9 0002162F
	v_cvt_pk_fp8_f32 v48, v45, v46 op_sel:[0,0,1]              // 0000000047E4: D2A24030 00025D2D
	v_cvt_off_f32_i4_sdwa v45, v47 dst_sel:DWORD dst_unused:UNUSED_PRESERVE src0_sel:BYTE_1// 0000000047EC: 7E5A1CF9 0001162F
	v_cvt_off_f32_i4_sdwa v46, v47 dst_sel:DWORD dst_unused:UNUSED_PRESERVE src0_sel:BYTE_3// 0000000047F4: 7E5C1CF9 0003162F
	v_cvt_pk_fp8_f32 v49, v45, v46 op_sel:[0,0,1]              // 0000000047FC: D2A24031 00025D2D
	v_accvgpr_write_b32 a8, v48                                // 000000004804: D3D94008 18000130
	v_accvgpr_write_b32 a9, v49                                // 00000000480C: D3D94009 18000131
	s_nop 3                                                    // 000000004814: BF800003
	v_mfma_f32_16x16x32_fp8_fp8 v[128:131], a[8:9], v[184:185], v[128:131]// 000000004818: D3F30080 0E037108
	v_accvgpr_read_b32 v44, a21                                // 000000004820: D3D8402C 18000115
	v_cvt_off_f32_i4_e32 v45, v44                              // 000000004828: 7E5A1D2C
	v_cvt_off_f32_i4_sdwa v46, v44 dst_sel:DWORD dst_unused:UNUSED_PRESERVE src0_sel:BYTE_2// 00000000482C: 7E5C1CF9 0002162C
	v_cvt_pk_fp8_f32 v48, v45, v46                             // 000000004834: D2A20030 00025D2D
	v_cvt_off_f32_i4_sdwa v45, v44 dst_sel:DWORD dst_unused:UNUSED_PRESERVE src0_sel:BYTE_1// 00000000483C: 7E5A1CF9 0001162C
	v_cvt_off_f32_i4_sdwa v46, v44 dst_sel:DWORD dst_unused:UNUSED_PRESERVE src0_sel:BYTE_3// 000000004844: 7E5C1CF9 0003162C
	v_cvt_pk_fp8_f32 v49, v45, v46                             // 00000000484C: D2A20031 00025D2D
	v_lshrrev_b32_e32 v47, 4, v44                              // 000000004854: 205E5884
	v_cvt_off_f32_i4_e32 v45, v47                              // 000000004858: 7E5A1D2F
	v_cvt_off_f32_i4_sdwa v46, v47 dst_sel:DWORD dst_unused:UNUSED_PRESERVE src0_sel:BYTE_2// 00000000485C: 7E5C1CF9 0002162F
	v_cvt_pk_fp8_f32 v48, v45, v46 op_sel:[0,0,1]              // 000000004864: D2A24030 00025D2D
	v_cvt_off_f32_i4_sdwa v45, v47 dst_sel:DWORD dst_unused:UNUSED_PRESERVE src0_sel:BYTE_1// 00000000486C: 7E5A1CF9 0001162F
	v_cvt_off_f32_i4_sdwa v46, v47 dst_sel:DWORD dst_unused:UNUSED_PRESERVE src0_sel:BYTE_3// 000000004874: 7E5C1CF9 0003162F
	v_cvt_pk_fp8_f32 v49, v45, v46 op_sel:[0,0,1]              // 00000000487C: D2A24031 00025D2D
	v_accvgpr_write_b32 a10, v48                               // 000000004884: D3D9400A 18000130
	v_accvgpr_write_b32 a11, v49                               // 00000000488C: D3D9400B 18000131
	s_nop 3                                                    // 000000004894: BF800003
	v_mfma_f32_16x16x32_fp8_fp8 v[128:131], a[10:11], v[186:187], v[128:131]// 000000004898: D3F30080 0E03750A
	v_accvgpr_read_b32 v44, a22                                // 0000000048A0: D3D8402C 18000116
	v_cvt_off_f32_i4_e32 v45, v44                              // 0000000048A8: 7E5A1D2C
	v_cvt_off_f32_i4_sdwa v46, v44 dst_sel:DWORD dst_unused:UNUSED_PRESERVE src0_sel:BYTE_2// 0000000048AC: 7E5C1CF9 0002162C
	v_cvt_pk_fp8_f32 v48, v45, v46                             // 0000000048B4: D2A20030 00025D2D
	v_cvt_off_f32_i4_sdwa v45, v44 dst_sel:DWORD dst_unused:UNUSED_PRESERVE src0_sel:BYTE_1// 0000000048BC: 7E5A1CF9 0001162C
	v_cvt_off_f32_i4_sdwa v46, v44 dst_sel:DWORD dst_unused:UNUSED_PRESERVE src0_sel:BYTE_3// 0000000048C4: 7E5C1CF9 0003162C
	v_cvt_pk_fp8_f32 v49, v45, v46                             // 0000000048CC: D2A20031 00025D2D
	v_lshrrev_b32_e32 v47, 4, v44                              // 0000000048D4: 205E5884
	v_cvt_off_f32_i4_e32 v45, v47                              // 0000000048D8: 7E5A1D2F
	v_cvt_off_f32_i4_sdwa v46, v47 dst_sel:DWORD dst_unused:UNUSED_PRESERVE src0_sel:BYTE_2// 0000000048DC: 7E5C1CF9 0002162F
	v_cvt_pk_fp8_f32 v48, v45, v46 op_sel:[0,0,1]              // 0000000048E4: D2A24030 00025D2D
	v_cvt_off_f32_i4_sdwa v45, v47 dst_sel:DWORD dst_unused:UNUSED_PRESERVE src0_sel:BYTE_1// 0000000048EC: 7E5A1CF9 0001162F
	v_cvt_off_f32_i4_sdwa v46, v47 dst_sel:DWORD dst_unused:UNUSED_PRESERVE src0_sel:BYTE_3// 0000000048F4: 7E5C1CF9 0003162F
	v_cvt_pk_fp8_f32 v49, v45, v46 op_sel:[0,0,1]              // 0000000048FC: D2A24031 00025D2D
	v_accvgpr_write_b32 a12, v48                               // 000000004904: D3D9400C 18000130
	v_accvgpr_write_b32 a13, v49                               // 00000000490C: D3D9400D 18000131
	s_nop 3                                                    // 000000004914: BF800003
	v_mfma_f32_16x16x32_fp8_fp8 v[128:131], a[12:13], v[188:189], v[128:131]// 000000004918: D3F30080 0E03790C
	v_accvgpr_read_b32 v44, a23                                // 000000004920: D3D8402C 18000117
	v_cvt_off_f32_i4_e32 v45, v44                              // 000000004928: 7E5A1D2C
	v_cvt_off_f32_i4_sdwa v46, v44 dst_sel:DWORD dst_unused:UNUSED_PRESERVE src0_sel:BYTE_2// 00000000492C: 7E5C1CF9 0002162C
	v_cvt_pk_fp8_f32 v48, v45, v46                             // 000000004934: D2A20030 00025D2D
	v_cvt_off_f32_i4_sdwa v45, v44 dst_sel:DWORD dst_unused:UNUSED_PRESERVE src0_sel:BYTE_1// 00000000493C: 7E5A1CF9 0001162C
	v_cvt_off_f32_i4_sdwa v46, v44 dst_sel:DWORD dst_unused:UNUSED_PRESERVE src0_sel:BYTE_3// 000000004944: 7E5C1CF9 0003162C
	v_cvt_pk_fp8_f32 v49, v45, v46                             // 00000000494C: D2A20031 00025D2D
	v_lshrrev_b32_e32 v47, 4, v44                              // 000000004954: 205E5884
	v_cvt_off_f32_i4_e32 v45, v47                              // 000000004958: 7E5A1D2F
	v_cvt_off_f32_i4_sdwa v46, v47 dst_sel:DWORD dst_unused:UNUSED_PRESERVE src0_sel:BYTE_2// 00000000495C: 7E5C1CF9 0002162F
	v_cvt_pk_fp8_f32 v48, v45, v46 op_sel:[0,0,1]              // 000000004964: D2A24030 00025D2D
	v_cvt_off_f32_i4_sdwa v45, v47 dst_sel:DWORD dst_unused:UNUSED_PRESERVE src0_sel:BYTE_1// 00000000496C: 7E5A1CF9 0001162F
	v_cvt_off_f32_i4_sdwa v46, v47 dst_sel:DWORD dst_unused:UNUSED_PRESERVE src0_sel:BYTE_3// 000000004974: 7E5C1CF9 0003162F
	v_cvt_pk_fp8_f32 v49, v45, v46 op_sel:[0,0,1]              // 00000000497C: D2A24031 00025D2D
	v_accvgpr_write_b32 a14, v48                               // 000000004984: D3D9400E 18000130
	v_accvgpr_write_b32 a15, v49                               // 00000000498C: D3D9400F 18000131
	s_nop 3                                                    // 000000004994: BF800003
	v_mfma_f32_16x16x32_fp8_fp8 v[128:131], a[14:15], v[190:191], v[128:131]// 000000004998: D3F30080 0E037D0E
	buffer_load_dword v25, s[20:23], 0 offen lds               // 0000000049A0: E0511000 80050019
	s_add_u32 m0, 0x200, s50                                   // 0000000049A8: 807C32FF 00000200
	v_mfma_f32_16x16x32_fp8_fp8 v[132:135], a[0:1], v[192:193], v[132:135]// 0000000049B0: D3F30084 0E138100
	v_mfma_f32_16x16x32_fp8_fp8 v[132:135], a[2:3], v[194:195], v[132:135]// 0000000049B8: D3F30084 0E138502
	buffer_load_dwordx4 a[52:55], v32, s[92:95], 0 offen offset:1024// 0000000049C0: E05C1400 80973420
	v_mfma_f32_16x16x32_fp8_fp8 v[132:135], a[4:5], v[196:197], v[132:135]// 0000000049C8: D3F30084 0E138904
	v_mfma_f32_16x16x32_fp8_fp8 v[132:135], a[6:7], v[198:199], v[132:135]// 0000000049D0: D3F30084 0E138D06
	buffer_load_dword v26, s[20:23], 0 offen lds               // 0000000049D8: E0511000 8005001A
	s_add_u32 m0, 0x300, s50                                   // 0000000049E0: 807C32FF 00000300
	v_mfma_f32_16x16x32_fp8_fp8 v[132:135], a[8:9], v[200:201], v[132:135]// 0000000049E8: D3F30084 0E139108
	v_mfma_f32_16x16x32_fp8_fp8 v[132:135], a[10:11], v[202:203], v[132:135]// 0000000049F0: D3F30084 0E13950A
	v_mfma_f32_16x16x32_fp8_fp8 v[132:135], a[12:13], v[204:205], v[132:135]// 0000000049F8: D3F30084 0E13990C
	v_mfma_f32_16x16x32_fp8_fp8 v[132:135], a[14:15], v[206:207], v[132:135]// 000000004A00: D3F30084 0E139D0E
	buffer_load_dword v27, s[20:23], 0 offen lds               // 000000004A08: E0511000 8005001B
	s_add_u32 m0, 0x400, s50                                   // 000000004A10: 807C32FF 00000400
	v_accvgpr_read_b32 v44, a24                                // 000000004A18: D3D8402C 18000118
	v_cvt_off_f32_i4_e32 v45, v44                              // 000000004A20: 7E5A1D2C
	v_cvt_off_f32_i4_sdwa v46, v44 dst_sel:DWORD dst_unused:UNUSED_PRESERVE src0_sel:BYTE_2// 000000004A24: 7E5C1CF9 0002162C
	v_cvt_pk_fp8_f32 v48, v45, v46                             // 000000004A2C: D2A20030 00025D2D
	v_cvt_off_f32_i4_sdwa v45, v44 dst_sel:DWORD dst_unused:UNUSED_PRESERVE src0_sel:BYTE_1// 000000004A34: 7E5A1CF9 0001162C
	v_cvt_off_f32_i4_sdwa v46, v44 dst_sel:DWORD dst_unused:UNUSED_PRESERVE src0_sel:BYTE_3// 000000004A3C: 7E5C1CF9 0003162C
	v_cvt_pk_fp8_f32 v49, v45, v46                             // 000000004A44: D2A20031 00025D2D
	v_lshrrev_b32_e32 v47, 4, v44                              // 000000004A4C: 205E5884
	v_cvt_off_f32_i4_e32 v45, v47                              // 000000004A50: 7E5A1D2F
	v_cvt_off_f32_i4_sdwa v46, v47 dst_sel:DWORD dst_unused:UNUSED_PRESERVE src0_sel:BYTE_2// 000000004A54: 7E5C1CF9 0002162F
	v_cvt_pk_fp8_f32 v48, v45, v46 op_sel:[0,0,1]              // 000000004A5C: D2A24030 00025D2D
	v_cvt_off_f32_i4_sdwa v45, v47 dst_sel:DWORD dst_unused:UNUSED_PRESERVE src0_sel:BYTE_1// 000000004A64: 7E5A1CF9 0001162F
	v_cvt_off_f32_i4_sdwa v46, v47 dst_sel:DWORD dst_unused:UNUSED_PRESERVE src0_sel:BYTE_3// 000000004A6C: 7E5C1CF9 0003162F
	v_cvt_pk_fp8_f32 v49, v45, v46 op_sel:[0,0,1]              // 000000004A74: D2A24031 00025D2D
	v_accvgpr_write_b32 a16, v48                               // 000000004A7C: D3D94010 18000130
	v_accvgpr_write_b32 a17, v49                               // 000000004A84: D3D94011 18000131
	s_nop 3                                                    // 000000004A8C: BF800003
	v_mfma_f32_16x16x32_fp8_fp8 v[136:139], a[16:17], v[176:177], v[136:139]// 000000004A90: D3F30088 0E236110
	v_accvgpr_read_b32 v44, a25                                // 000000004A98: D3D8402C 18000119
	v_cvt_off_f32_i4_e32 v45, v44                              // 000000004AA0: 7E5A1D2C
	v_cvt_off_f32_i4_sdwa v46, v44 dst_sel:DWORD dst_unused:UNUSED_PRESERVE src0_sel:BYTE_2// 000000004AA4: 7E5C1CF9 0002162C
	v_cvt_pk_fp8_f32 v48, v45, v46                             // 000000004AAC: D2A20030 00025D2D
	v_cvt_off_f32_i4_sdwa v45, v44 dst_sel:DWORD dst_unused:UNUSED_PRESERVE src0_sel:BYTE_1// 000000004AB4: 7E5A1CF9 0001162C
	v_cvt_off_f32_i4_sdwa v46, v44 dst_sel:DWORD dst_unused:UNUSED_PRESERVE src0_sel:BYTE_3// 000000004ABC: 7E5C1CF9 0003162C
	v_cvt_pk_fp8_f32 v49, v45, v46                             // 000000004AC4: D2A20031 00025D2D
	v_lshrrev_b32_e32 v47, 4, v44                              // 000000004ACC: 205E5884
	v_cvt_off_f32_i4_e32 v45, v47                              // 000000004AD0: 7E5A1D2F
	v_cvt_off_f32_i4_sdwa v46, v47 dst_sel:DWORD dst_unused:UNUSED_PRESERVE src0_sel:BYTE_2// 000000004AD4: 7E5C1CF9 0002162F
	v_cvt_pk_fp8_f32 v48, v45, v46 op_sel:[0,0,1]              // 000000004ADC: D2A24030 00025D2D
	v_cvt_off_f32_i4_sdwa v45, v47 dst_sel:DWORD dst_unused:UNUSED_PRESERVE src0_sel:BYTE_1// 000000004AE4: 7E5A1CF9 0001162F
	v_cvt_off_f32_i4_sdwa v46, v47 dst_sel:DWORD dst_unused:UNUSED_PRESERVE src0_sel:BYTE_3// 000000004AEC: 7E5C1CF9 0003162F
	v_cvt_pk_fp8_f32 v49, v45, v46 op_sel:[0,0,1]              // 000000004AF4: D2A24031 00025D2D
	v_accvgpr_write_b32 a18, v48                               // 000000004AFC: D3D94012 18000130
	v_accvgpr_write_b32 a19, v49                               // 000000004B04: D3D94013 18000131
	s_nop 3                                                    // 000000004B0C: BF800003
	v_mfma_f32_16x16x32_fp8_fp8 v[136:139], a[18:19], v[178:179], v[136:139]// 000000004B10: D3F30088 0E236512
	buffer_load_dwordx4 a[56:59], v33, s[92:95], 0 offen       // 000000004B18: E05C1000 80973821
	v_accvgpr_read_b32 v44, a26                                // 000000004B20: D3D8402C 1800011A
	v_cvt_off_f32_i4_e32 v45, v44                              // 000000004B28: 7E5A1D2C
	v_cvt_off_f32_i4_sdwa v46, v44 dst_sel:DWORD dst_unused:UNUSED_PRESERVE src0_sel:BYTE_2// 000000004B2C: 7E5C1CF9 0002162C
	v_cvt_pk_fp8_f32 v48, v45, v46                             // 000000004B34: D2A20030 00025D2D
	v_cvt_off_f32_i4_sdwa v45, v44 dst_sel:DWORD dst_unused:UNUSED_PRESERVE src0_sel:BYTE_1// 000000004B3C: 7E5A1CF9 0001162C
	v_cvt_off_f32_i4_sdwa v46, v44 dst_sel:DWORD dst_unused:UNUSED_PRESERVE src0_sel:BYTE_3// 000000004B44: 7E5C1CF9 0003162C
	v_cvt_pk_fp8_f32 v49, v45, v46                             // 000000004B4C: D2A20031 00025D2D
	v_lshrrev_b32_e32 v47, 4, v44                              // 000000004B54: 205E5884
	v_cvt_off_f32_i4_e32 v45, v47                              // 000000004B58: 7E5A1D2F
	v_cvt_off_f32_i4_sdwa v46, v47 dst_sel:DWORD dst_unused:UNUSED_PRESERVE src0_sel:BYTE_2// 000000004B5C: 7E5C1CF9 0002162F
	v_cvt_pk_fp8_f32 v48, v45, v46 op_sel:[0,0,1]              // 000000004B64: D2A24030 00025D2D
	v_cvt_off_f32_i4_sdwa v45, v47 dst_sel:DWORD dst_unused:UNUSED_PRESERVE src0_sel:BYTE_1// 000000004B6C: 7E5A1CF9 0001162F
	v_cvt_off_f32_i4_sdwa v46, v47 dst_sel:DWORD dst_unused:UNUSED_PRESERVE src0_sel:BYTE_3// 000000004B74: 7E5C1CF9 0003162F
	v_cvt_pk_fp8_f32 v49, v45, v46 op_sel:[0,0,1]              // 000000004B7C: D2A24031 00025D2D
	v_accvgpr_write_b32 a20, v48                               // 000000004B84: D3D94014 18000130
	v_accvgpr_write_b32 a21, v49                               // 000000004B8C: D3D94015 18000131
	s_nop 3                                                    // 000000004B94: BF800003
	v_mfma_f32_16x16x32_fp8_fp8 v[136:139], a[20:21], v[180:181], v[136:139]// 000000004B98: D3F30088 0E236914
	v_accvgpr_read_b32 v44, a27                                // 000000004BA0: D3D8402C 1800011B
	v_cvt_off_f32_i4_e32 v45, v44                              // 000000004BA8: 7E5A1D2C
	v_cvt_off_f32_i4_sdwa v46, v44 dst_sel:DWORD dst_unused:UNUSED_PRESERVE src0_sel:BYTE_2// 000000004BAC: 7E5C1CF9 0002162C
	v_cvt_pk_fp8_f32 v48, v45, v46                             // 000000004BB4: D2A20030 00025D2D
	v_cvt_off_f32_i4_sdwa v45, v44 dst_sel:DWORD dst_unused:UNUSED_PRESERVE src0_sel:BYTE_1// 000000004BBC: 7E5A1CF9 0001162C
	v_cvt_off_f32_i4_sdwa v46, v44 dst_sel:DWORD dst_unused:UNUSED_PRESERVE src0_sel:BYTE_3// 000000004BC4: 7E5C1CF9 0003162C
	v_cvt_pk_fp8_f32 v49, v45, v46                             // 000000004BCC: D2A20031 00025D2D
	v_lshrrev_b32_e32 v47, 4, v44                              // 000000004BD4: 205E5884
	v_cvt_off_f32_i4_e32 v45, v47                              // 000000004BD8: 7E5A1D2F
	v_cvt_off_f32_i4_sdwa v46, v47 dst_sel:DWORD dst_unused:UNUSED_PRESERVE src0_sel:BYTE_2// 000000004BDC: 7E5C1CF9 0002162F
	v_cvt_pk_fp8_f32 v48, v45, v46 op_sel:[0,0,1]              // 000000004BE4: D2A24030 00025D2D
	v_cvt_off_f32_i4_sdwa v45, v47 dst_sel:DWORD dst_unused:UNUSED_PRESERVE src0_sel:BYTE_1// 000000004BEC: 7E5A1CF9 0001162F
	v_cvt_off_f32_i4_sdwa v46, v47 dst_sel:DWORD dst_unused:UNUSED_PRESERVE src0_sel:BYTE_3// 000000004BF4: 7E5C1CF9 0003162F
	v_cvt_pk_fp8_f32 v49, v45, v46 op_sel:[0,0,1]              // 000000004BFC: D2A24031 00025D2D
	v_accvgpr_write_b32 a22, v48                               // 000000004C04: D3D94016 18000130
	v_accvgpr_write_b32 a23, v49                               // 000000004C0C: D3D94017 18000131
	s_nop 3                                                    // 000000004C14: BF800003
	v_mfma_f32_16x16x32_fp8_fp8 v[136:139], a[22:23], v[182:183], v[136:139]// 000000004C18: D3F30088 0E236D16
	buffer_load_dword v28, s[20:23], 0 offen lds               // 000000004C20: E0511000 8005001C
	s_add_u32 m0, 0x500, s50                                   // 000000004C28: 807C32FF 00000500
	v_accvgpr_read_b32 v44, a28                                // 000000004C30: D3D8402C 1800011C
	v_cvt_off_f32_i4_e32 v45, v44                              // 000000004C38: 7E5A1D2C
	v_cvt_off_f32_i4_sdwa v46, v44 dst_sel:DWORD dst_unused:UNUSED_PRESERVE src0_sel:BYTE_2// 000000004C3C: 7E5C1CF9 0002162C
	v_cvt_pk_fp8_f32 v48, v45, v46                             // 000000004C44: D2A20030 00025D2D
	v_cvt_off_f32_i4_sdwa v45, v44 dst_sel:DWORD dst_unused:UNUSED_PRESERVE src0_sel:BYTE_1// 000000004C4C: 7E5A1CF9 0001162C
	v_cvt_off_f32_i4_sdwa v46, v44 dst_sel:DWORD dst_unused:UNUSED_PRESERVE src0_sel:BYTE_3// 000000004C54: 7E5C1CF9 0003162C
	v_cvt_pk_fp8_f32 v49, v45, v46                             // 000000004C5C: D2A20031 00025D2D
	v_lshrrev_b32_e32 v47, 4, v44                              // 000000004C64: 205E5884
	v_cvt_off_f32_i4_e32 v45, v47                              // 000000004C68: 7E5A1D2F
	v_cvt_off_f32_i4_sdwa v46, v47 dst_sel:DWORD dst_unused:UNUSED_PRESERVE src0_sel:BYTE_2// 000000004C6C: 7E5C1CF9 0002162F
	v_cvt_pk_fp8_f32 v48, v45, v46 op_sel:[0,0,1]              // 000000004C74: D2A24030 00025D2D
	v_cvt_off_f32_i4_sdwa v45, v47 dst_sel:DWORD dst_unused:UNUSED_PRESERVE src0_sel:BYTE_1// 000000004C7C: 7E5A1CF9 0001162F
	v_cvt_off_f32_i4_sdwa v46, v47 dst_sel:DWORD dst_unused:UNUSED_PRESERVE src0_sel:BYTE_3// 000000004C84: 7E5C1CF9 0003162F
	v_cvt_pk_fp8_f32 v49, v45, v46 op_sel:[0,0,1]              // 000000004C8C: D2A24031 00025D2D
	v_accvgpr_write_b32 a24, v48                               // 000000004C94: D3D94018 18000130
	v_accvgpr_write_b32 a25, v49                               // 000000004C9C: D3D94019 18000131
	s_nop 3                                                    // 000000004CA4: BF800003
	v_mfma_f32_16x16x32_fp8_fp8 v[136:139], a[24:25], v[184:185], v[136:139]// 000000004CA8: D3F30088 0E237118
	v_accvgpr_read_b32 v44, a29                                // 000000004CB0: D3D8402C 1800011D
	v_cvt_off_f32_i4_e32 v45, v44                              // 000000004CB8: 7E5A1D2C
	v_cvt_off_f32_i4_sdwa v46, v44 dst_sel:DWORD dst_unused:UNUSED_PRESERVE src0_sel:BYTE_2// 000000004CBC: 7E5C1CF9 0002162C
	v_cvt_pk_fp8_f32 v48, v45, v46                             // 000000004CC4: D2A20030 00025D2D
	v_cvt_off_f32_i4_sdwa v45, v44 dst_sel:DWORD dst_unused:UNUSED_PRESERVE src0_sel:BYTE_1// 000000004CCC: 7E5A1CF9 0001162C
	v_cvt_off_f32_i4_sdwa v46, v44 dst_sel:DWORD dst_unused:UNUSED_PRESERVE src0_sel:BYTE_3// 000000004CD4: 7E5C1CF9 0003162C
	v_cvt_pk_fp8_f32 v49, v45, v46                             // 000000004CDC: D2A20031 00025D2D
	v_lshrrev_b32_e32 v47, 4, v44                              // 000000004CE4: 205E5884
	v_cvt_off_f32_i4_e32 v45, v47                              // 000000004CE8: 7E5A1D2F
	v_cvt_off_f32_i4_sdwa v46, v47 dst_sel:DWORD dst_unused:UNUSED_PRESERVE src0_sel:BYTE_2// 000000004CEC: 7E5C1CF9 0002162F
	v_cvt_pk_fp8_f32 v48, v45, v46 op_sel:[0,0,1]              // 000000004CF4: D2A24030 00025D2D
	v_cvt_off_f32_i4_sdwa v45, v47 dst_sel:DWORD dst_unused:UNUSED_PRESERVE src0_sel:BYTE_1// 000000004CFC: 7E5A1CF9 0001162F
	v_cvt_off_f32_i4_sdwa v46, v47 dst_sel:DWORD dst_unused:UNUSED_PRESERVE src0_sel:BYTE_3// 000000004D04: 7E5C1CF9 0003162F
	v_cvt_pk_fp8_f32 v49, v45, v46 op_sel:[0,0,1]              // 000000004D0C: D2A24031 00025D2D
	v_accvgpr_write_b32 a26, v48                               // 000000004D14: D3D9401A 18000130
	v_accvgpr_write_b32 a27, v49                               // 000000004D1C: D3D9401B 18000131
	s_nop 3                                                    // 000000004D24: BF800003
	v_mfma_f32_16x16x32_fp8_fp8 v[136:139], a[26:27], v[186:187], v[136:139]// 000000004D28: D3F30088 0E23751A
	v_accvgpr_read_b32 v44, a30                                // 000000004D30: D3D8402C 1800011E
	v_cvt_off_f32_i4_e32 v45, v44                              // 000000004D38: 7E5A1D2C
	v_cvt_off_f32_i4_sdwa v46, v44 dst_sel:DWORD dst_unused:UNUSED_PRESERVE src0_sel:BYTE_2// 000000004D3C: 7E5C1CF9 0002162C
	v_cvt_pk_fp8_f32 v48, v45, v46                             // 000000004D44: D2A20030 00025D2D
	v_cvt_off_f32_i4_sdwa v45, v44 dst_sel:DWORD dst_unused:UNUSED_PRESERVE src0_sel:BYTE_1// 000000004D4C: 7E5A1CF9 0001162C
	v_cvt_off_f32_i4_sdwa v46, v44 dst_sel:DWORD dst_unused:UNUSED_PRESERVE src0_sel:BYTE_3// 000000004D54: 7E5C1CF9 0003162C
	v_cvt_pk_fp8_f32 v49, v45, v46                             // 000000004D5C: D2A20031 00025D2D
	v_lshrrev_b32_e32 v47, 4, v44                              // 000000004D64: 205E5884
	v_cvt_off_f32_i4_e32 v45, v47                              // 000000004D68: 7E5A1D2F
	v_cvt_off_f32_i4_sdwa v46, v47 dst_sel:DWORD dst_unused:UNUSED_PRESERVE src0_sel:BYTE_2// 000000004D6C: 7E5C1CF9 0002162F
	v_cvt_pk_fp8_f32 v48, v45, v46 op_sel:[0,0,1]              // 000000004D74: D2A24030 00025D2D
	v_cvt_off_f32_i4_sdwa v45, v47 dst_sel:DWORD dst_unused:UNUSED_PRESERVE src0_sel:BYTE_1// 000000004D7C: 7E5A1CF9 0001162F
	v_cvt_off_f32_i4_sdwa v46, v47 dst_sel:DWORD dst_unused:UNUSED_PRESERVE src0_sel:BYTE_3// 000000004D84: 7E5C1CF9 0003162F
	v_cvt_pk_fp8_f32 v49, v45, v46 op_sel:[0,0,1]              // 000000004D8C: D2A24031 00025D2D
	v_accvgpr_write_b32 a28, v48                               // 000000004D94: D3D9401C 18000130
	v_accvgpr_write_b32 a29, v49                               // 000000004D9C: D3D9401D 18000131
	s_nop 3                                                    // 000000004DA4: BF800003
	v_mfma_f32_16x16x32_fp8_fp8 v[136:139], a[28:29], v[188:189], v[136:139]// 000000004DA8: D3F30088 0E23791C
	v_accvgpr_read_b32 v44, a31                                // 000000004DB0: D3D8402C 1800011F
	v_cvt_off_f32_i4_e32 v45, v44                              // 000000004DB8: 7E5A1D2C
	v_cvt_off_f32_i4_sdwa v46, v44 dst_sel:DWORD dst_unused:UNUSED_PRESERVE src0_sel:BYTE_2// 000000004DBC: 7E5C1CF9 0002162C
	v_cvt_pk_fp8_f32 v48, v45, v46                             // 000000004DC4: D2A20030 00025D2D
	v_cvt_off_f32_i4_sdwa v45, v44 dst_sel:DWORD dst_unused:UNUSED_PRESERVE src0_sel:BYTE_1// 000000004DCC: 7E5A1CF9 0001162C
	v_cvt_off_f32_i4_sdwa v46, v44 dst_sel:DWORD dst_unused:UNUSED_PRESERVE src0_sel:BYTE_3// 000000004DD4: 7E5C1CF9 0003162C
	v_cvt_pk_fp8_f32 v49, v45, v46                             // 000000004DDC: D2A20031 00025D2D
	v_lshrrev_b32_e32 v47, 4, v44                              // 000000004DE4: 205E5884
	v_cvt_off_f32_i4_e32 v45, v47                              // 000000004DE8: 7E5A1D2F
	v_cvt_off_f32_i4_sdwa v46, v47 dst_sel:DWORD dst_unused:UNUSED_PRESERVE src0_sel:BYTE_2// 000000004DEC: 7E5C1CF9 0002162F
	v_cvt_pk_fp8_f32 v48, v45, v46 op_sel:[0,0,1]              // 000000004DF4: D2A24030 00025D2D
	v_cvt_off_f32_i4_sdwa v45, v47 dst_sel:DWORD dst_unused:UNUSED_PRESERVE src0_sel:BYTE_1// 000000004DFC: 7E5A1CF9 0001162F
	v_cvt_off_f32_i4_sdwa v46, v47 dst_sel:DWORD dst_unused:UNUSED_PRESERVE src0_sel:BYTE_3// 000000004E04: 7E5C1CF9 0003162F
	v_cvt_pk_fp8_f32 v49, v45, v46 op_sel:[0,0,1]              // 000000004E0C: D2A24031 00025D2D
	v_accvgpr_write_b32 a30, v48                               // 000000004E14: D3D9401E 18000130
	v_accvgpr_write_b32 a31, v49                               // 000000004E1C: D3D9401F 18000131
	s_nop 3                                                    // 000000004E24: BF800003
	v_mfma_f32_16x16x32_fp8_fp8 v[136:139], a[30:31], v[190:191], v[136:139]// 000000004E28: D3F30088 0E237D1E
	buffer_load_dword v29, s[20:23], 0 offen lds               // 000000004E30: E0511000 8005001D
	s_add_u32 m0, 0x600, s50                                   // 000000004E38: 807C32FF 00000600
	v_mfma_f32_16x16x32_fp8_fp8 v[140:143], a[16:17], v[192:193], v[140:143]// 000000004E40: D3F3008C 0E338110
	v_mfma_f32_16x16x32_fp8_fp8 v[140:143], a[18:19], v[194:195], v[140:143]// 000000004E48: D3F3008C 0E338512
	buffer_load_dwordx4 a[60:63], v33, s[92:95], 0 offen offset:1024// 000000004E50: E05C1400 80973C21
	v_mfma_f32_16x16x32_fp8_fp8 v[140:143], a[20:21], v[196:197], v[140:143]// 000000004E58: D3F3008C 0E338914
	v_mfma_f32_16x16x32_fp8_fp8 v[140:143], a[22:23], v[198:199], v[140:143]// 000000004E60: D3F3008C 0E338D16
	buffer_load_dword v30, s[20:23], 0 offen lds               // 000000004E68: E0511000 8005001E
	s_add_u32 m0, 0x700, s50                                   // 000000004E70: 807C32FF 00000700
	v_mfma_f32_16x16x32_fp8_fp8 v[140:143], a[24:25], v[200:201], v[140:143]// 000000004E78: D3F3008C 0E339118
	v_mfma_f32_16x16x32_fp8_fp8 v[140:143], a[26:27], v[202:203], v[140:143]// 000000004E80: D3F3008C 0E33951A
	v_mfma_f32_16x16x32_fp8_fp8 v[140:143], a[28:29], v[204:205], v[140:143]// 000000004E88: D3F3008C 0E33991C
	v_mfma_f32_16x16x32_fp8_fp8 v[140:143], a[30:31], v[206:207], v[140:143]// 000000004E90: D3F3008C 0E339D1E
	buffer_load_dword v31, s[20:23], 0 offen lds               // 000000004E98: E0511000 8005001F
	s_add_u32 m0, 0, s51                                       // 000000004EA0: 807C3380
	s_waitcnt vmcnt(0)                                         // 000000004EA4: BF8C0F70
	s_barrier                                                  // 000000004EA8: BF8A0000
	v_accvgpr_read_b32 v44, a48                                // 000000004EAC: D3D8402C 18000130
	v_cvt_off_f32_i4_e32 v45, v44                              // 000000004EB4: 7E5A1D2C
	v_cvt_off_f32_i4_sdwa v46, v44 dst_sel:DWORD dst_unused:UNUSED_PRESERVE src0_sel:BYTE_2// 000000004EB8: 7E5C1CF9 0002162C
	v_cvt_pk_fp8_f32 v48, v45, v46                             // 000000004EC0: D2A20030 00025D2D
	v_cvt_off_f32_i4_sdwa v45, v44 dst_sel:DWORD dst_unused:UNUSED_PRESERVE src0_sel:BYTE_1// 000000004EC8: 7E5A1CF9 0001162C
	v_cvt_off_f32_i4_sdwa v46, v44 dst_sel:DWORD dst_unused:UNUSED_PRESERVE src0_sel:BYTE_3// 000000004ED0: 7E5C1CF9 0003162C
	v_cvt_pk_fp8_f32 v49, v45, v46                             // 000000004ED8: D2A20031 00025D2D
	v_lshrrev_b32_e32 v47, 4, v44                              // 000000004EE0: 205E5884
	v_cvt_off_f32_i4_e32 v45, v47                              // 000000004EE4: 7E5A1D2F
	v_cvt_off_f32_i4_sdwa v46, v47 dst_sel:DWORD dst_unused:UNUSED_PRESERVE src0_sel:BYTE_2// 000000004EE8: 7E5C1CF9 0002162F
	v_cvt_pk_fp8_f32 v48, v45, v46 op_sel:[0,0,1]              // 000000004EF0: D2A24030 00025D2D
	v_cvt_off_f32_i4_sdwa v45, v47 dst_sel:DWORD dst_unused:UNUSED_PRESERVE src0_sel:BYTE_1// 000000004EF8: 7E5A1CF9 0001162F
	v_cvt_off_f32_i4_sdwa v46, v47 dst_sel:DWORD dst_unused:UNUSED_PRESERVE src0_sel:BYTE_3// 000000004F00: 7E5C1CF9 0003162F
	v_cvt_pk_fp8_f32 v49, v45, v46 op_sel:[0,0,1]              // 000000004F08: D2A24031 00025D2D
	v_accvgpr_write_b32 a32, v48                               // 000000004F10: D3D94020 18000130
	v_accvgpr_write_b32 a33, v49                               // 000000004F18: D3D94021 18000131
	s_nop 3                                                    // 000000004F20: BF800003
	v_mfma_f32_16x16x32_fp8_fp8 v[64:67], a[32:33], v[176:177], v[64:67]// 000000004F24: D3F30040 0D036120
	v_accvgpr_read_b32 v44, a49                                // 000000004F2C: D3D8402C 18000131
	v_cvt_off_f32_i4_e32 v45, v44                              // 000000004F34: 7E5A1D2C
	v_cvt_off_f32_i4_sdwa v46, v44 dst_sel:DWORD dst_unused:UNUSED_PRESERVE src0_sel:BYTE_2// 000000004F38: 7E5C1CF9 0002162C
	v_cvt_pk_fp8_f32 v48, v45, v46                             // 000000004F40: D2A20030 00025D2D
	v_cvt_off_f32_i4_sdwa v45, v44 dst_sel:DWORD dst_unused:UNUSED_PRESERVE src0_sel:BYTE_1// 000000004F48: 7E5A1CF9 0001162C
	v_cvt_off_f32_i4_sdwa v46, v44 dst_sel:DWORD dst_unused:UNUSED_PRESERVE src0_sel:BYTE_3// 000000004F50: 7E5C1CF9 0003162C
	v_cvt_pk_fp8_f32 v49, v45, v46                             // 000000004F58: D2A20031 00025D2D
	v_lshrrev_b32_e32 v47, 4, v44                              // 000000004F60: 205E5884
	v_cvt_off_f32_i4_e32 v45, v47                              // 000000004F64: 7E5A1D2F
	v_cvt_off_f32_i4_sdwa v46, v47 dst_sel:DWORD dst_unused:UNUSED_PRESERVE src0_sel:BYTE_2// 000000004F68: 7E5C1CF9 0002162F
	v_cvt_pk_fp8_f32 v48, v45, v46 op_sel:[0,0,1]              // 000000004F70: D2A24030 00025D2D
	v_cvt_off_f32_i4_sdwa v45, v47 dst_sel:DWORD dst_unused:UNUSED_PRESERVE src0_sel:BYTE_1// 000000004F78: 7E5A1CF9 0001162F
	v_cvt_off_f32_i4_sdwa v46, v47 dst_sel:DWORD dst_unused:UNUSED_PRESERVE src0_sel:BYTE_3// 000000004F80: 7E5C1CF9 0003162F
	v_cvt_pk_fp8_f32 v49, v45, v46 op_sel:[0,0,1]              // 000000004F88: D2A24031 00025D2D
	v_accvgpr_write_b32 a34, v48                               // 000000004F90: D3D94022 18000130
	v_accvgpr_write_b32 a35, v49                               // 000000004F98: D3D94023 18000131
	s_nop 3                                                    // 000000004FA0: BF800003
	v_mfma_f32_16x16x32_fp8_fp8 v[64:67], a[34:35], v[178:179], v[64:67]// 000000004FA4: D3F30040 0D036522
	buffer_load_dwordx4 a[16:19], v32, s[24:27], 0 offen       // 000000004FAC: E05C1000 80861020
	v_accvgpr_read_b32 v44, a50                                // 000000004FB4: D3D8402C 18000132
	v_cvt_off_f32_i4_e32 v45, v44                              // 000000004FBC: 7E5A1D2C
	v_cvt_off_f32_i4_sdwa v46, v44 dst_sel:DWORD dst_unused:UNUSED_PRESERVE src0_sel:BYTE_2// 000000004FC0: 7E5C1CF9 0002162C
	v_cvt_pk_fp8_f32 v48, v45, v46                             // 000000004FC8: D2A20030 00025D2D
	v_cvt_off_f32_i4_sdwa v45, v44 dst_sel:DWORD dst_unused:UNUSED_PRESERVE src0_sel:BYTE_1// 000000004FD0: 7E5A1CF9 0001162C
	v_cvt_off_f32_i4_sdwa v46, v44 dst_sel:DWORD dst_unused:UNUSED_PRESERVE src0_sel:BYTE_3// 000000004FD8: 7E5C1CF9 0003162C
	v_cvt_pk_fp8_f32 v49, v45, v46                             // 000000004FE0: D2A20031 00025D2D
	v_lshrrev_b32_e32 v47, 4, v44                              // 000000004FE8: 205E5884
	v_cvt_off_f32_i4_e32 v45, v47                              // 000000004FEC: 7E5A1D2F
	v_cvt_off_f32_i4_sdwa v46, v47 dst_sel:DWORD dst_unused:UNUSED_PRESERVE src0_sel:BYTE_2// 000000004FF0: 7E5C1CF9 0002162F
	v_cvt_pk_fp8_f32 v48, v45, v46 op_sel:[0,0,1]              // 000000004FF8: D2A24030 00025D2D
	v_cvt_off_f32_i4_sdwa v45, v47 dst_sel:DWORD dst_unused:UNUSED_PRESERVE src0_sel:BYTE_1// 000000005000: 7E5A1CF9 0001162F
	v_cvt_off_f32_i4_sdwa v46, v47 dst_sel:DWORD dst_unused:UNUSED_PRESERVE src0_sel:BYTE_3// 000000005008: 7E5C1CF9 0003162F
	v_cvt_pk_fp8_f32 v49, v45, v46 op_sel:[0,0,1]              // 000000005010: D2A24031 00025D2D
	v_accvgpr_write_b32 a36, v48                               // 000000005018: D3D94024 18000130
	v_accvgpr_write_b32 a37, v49                               // 000000005020: D3D94025 18000131
	s_nop 3                                                    // 000000005028: BF800003
	v_mfma_f32_16x16x32_fp8_fp8 v[64:67], a[36:37], v[180:181], v[64:67]// 00000000502C: D3F30040 0D036924
	v_accvgpr_read_b32 v44, a51                                // 000000005034: D3D8402C 18000133
	v_cvt_off_f32_i4_e32 v45, v44                              // 00000000503C: 7E5A1D2C
	v_cvt_off_f32_i4_sdwa v46, v44 dst_sel:DWORD dst_unused:UNUSED_PRESERVE src0_sel:BYTE_2// 000000005040: 7E5C1CF9 0002162C
	v_cvt_pk_fp8_f32 v48, v45, v46                             // 000000005048: D2A20030 00025D2D
	v_cvt_off_f32_i4_sdwa v45, v44 dst_sel:DWORD dst_unused:UNUSED_PRESERVE src0_sel:BYTE_1// 000000005050: 7E5A1CF9 0001162C
	v_cvt_off_f32_i4_sdwa v46, v44 dst_sel:DWORD dst_unused:UNUSED_PRESERVE src0_sel:BYTE_3// 000000005058: 7E5C1CF9 0003162C
	v_cvt_pk_fp8_f32 v49, v45, v46                             // 000000005060: D2A20031 00025D2D
	v_lshrrev_b32_e32 v47, 4, v44                              // 000000005068: 205E5884
	v_cvt_off_f32_i4_e32 v45, v47                              // 00000000506C: 7E5A1D2F
	v_cvt_off_f32_i4_sdwa v46, v47 dst_sel:DWORD dst_unused:UNUSED_PRESERVE src0_sel:BYTE_2// 000000005070: 7E5C1CF9 0002162F
	v_cvt_pk_fp8_f32 v48, v45, v46 op_sel:[0,0,1]              // 000000005078: D2A24030 00025D2D
	v_cvt_off_f32_i4_sdwa v45, v47 dst_sel:DWORD dst_unused:UNUSED_PRESERVE src0_sel:BYTE_1// 000000005080: 7E5A1CF9 0001162F
	v_cvt_off_f32_i4_sdwa v46, v47 dst_sel:DWORD dst_unused:UNUSED_PRESERVE src0_sel:BYTE_3// 000000005088: 7E5C1CF9 0003162F
	v_cvt_pk_fp8_f32 v49, v45, v46 op_sel:[0,0,1]              // 000000005090: D2A24031 00025D2D
	v_accvgpr_write_b32 a38, v48                               // 000000005098: D3D94026 18000130
	v_accvgpr_write_b32 a39, v49                               // 0000000050A0: D3D94027 18000131
	s_nop 3                                                    // 0000000050A8: BF800003
	v_mfma_f32_16x16x32_fp8_fp8 v[64:67], a[38:39], v[182:183], v[64:67]// 0000000050AC: D3F30040 0D036D26
	ds_read_b128 v[144:147], v2                                // 0000000050B4: D9FE0000 90000002
	v_accvgpr_read_b32 v44, a52                                // 0000000050BC: D3D8402C 18000134
	v_cvt_off_f32_i4_e32 v45, v44                              // 0000000050C4: 7E5A1D2C
	v_cvt_off_f32_i4_sdwa v46, v44 dst_sel:DWORD dst_unused:UNUSED_PRESERVE src0_sel:BYTE_2// 0000000050C8: 7E5C1CF9 0002162C
	v_cvt_pk_fp8_f32 v48, v45, v46                             // 0000000050D0: D2A20030 00025D2D
	v_cvt_off_f32_i4_sdwa v45, v44 dst_sel:DWORD dst_unused:UNUSED_PRESERVE src0_sel:BYTE_1// 0000000050D8: 7E5A1CF9 0001162C
	v_cvt_off_f32_i4_sdwa v46, v44 dst_sel:DWORD dst_unused:UNUSED_PRESERVE src0_sel:BYTE_3// 0000000050E0: 7E5C1CF9 0003162C
	v_cvt_pk_fp8_f32 v49, v45, v46                             // 0000000050E8: D2A20031 00025D2D
	v_lshrrev_b32_e32 v47, 4, v44                              // 0000000050F0: 205E5884
	v_cvt_off_f32_i4_e32 v45, v47                              // 0000000050F4: 7E5A1D2F
	v_cvt_off_f32_i4_sdwa v46, v47 dst_sel:DWORD dst_unused:UNUSED_PRESERVE src0_sel:BYTE_2// 0000000050F8: 7E5C1CF9 0002162F
	v_cvt_pk_fp8_f32 v48, v45, v46 op_sel:[0,0,1]              // 000000005100: D2A24030 00025D2D
	v_cvt_off_f32_i4_sdwa v45, v47 dst_sel:DWORD dst_unused:UNUSED_PRESERVE src0_sel:BYTE_1// 000000005108: 7E5A1CF9 0001162F
	v_cvt_off_f32_i4_sdwa v46, v47 dst_sel:DWORD dst_unused:UNUSED_PRESERVE src0_sel:BYTE_3// 000000005110: 7E5C1CF9 0003162F
	v_cvt_pk_fp8_f32 v49, v45, v46 op_sel:[0,0,1]              // 000000005118: D2A24031 00025D2D
	v_accvgpr_write_b32 a40, v48                               // 000000005120: D3D94028 18000130
	v_accvgpr_write_b32 a41, v49                               // 000000005128: D3D94029 18000131
	s_nop 3                                                    // 000000005130: BF800003
	v_mfma_f32_16x16x32_fp8_fp8 v[64:67], a[40:41], v[184:185], v[64:67]// 000000005134: D3F30040 0D037128
	v_accvgpr_read_b32 v44, a53                                // 00000000513C: D3D8402C 18000135
	v_cvt_off_f32_i4_e32 v45, v44                              // 000000005144: 7E5A1D2C
	v_cvt_off_f32_i4_sdwa v46, v44 dst_sel:DWORD dst_unused:UNUSED_PRESERVE src0_sel:BYTE_2// 000000005148: 7E5C1CF9 0002162C
	v_cvt_pk_fp8_f32 v48, v45, v46                             // 000000005150: D2A20030 00025D2D
	v_cvt_off_f32_i4_sdwa v45, v44 dst_sel:DWORD dst_unused:UNUSED_PRESERVE src0_sel:BYTE_1// 000000005158: 7E5A1CF9 0001162C
	v_cvt_off_f32_i4_sdwa v46, v44 dst_sel:DWORD dst_unused:UNUSED_PRESERVE src0_sel:BYTE_3// 000000005160: 7E5C1CF9 0003162C
	v_cvt_pk_fp8_f32 v49, v45, v46                             // 000000005168: D2A20031 00025D2D
	v_lshrrev_b32_e32 v47, 4, v44                              // 000000005170: 205E5884
	v_cvt_off_f32_i4_e32 v45, v47                              // 000000005174: 7E5A1D2F
	v_cvt_off_f32_i4_sdwa v46, v47 dst_sel:DWORD dst_unused:UNUSED_PRESERVE src0_sel:BYTE_2// 000000005178: 7E5C1CF9 0002162F
	v_cvt_pk_fp8_f32 v48, v45, v46 op_sel:[0,0,1]              // 000000005180: D2A24030 00025D2D
	v_cvt_off_f32_i4_sdwa v45, v47 dst_sel:DWORD dst_unused:UNUSED_PRESERVE src0_sel:BYTE_1// 000000005188: 7E5A1CF9 0001162F
	v_cvt_off_f32_i4_sdwa v46, v47 dst_sel:DWORD dst_unused:UNUSED_PRESERVE src0_sel:BYTE_3// 000000005190: 7E5C1CF9 0003162F
	v_cvt_pk_fp8_f32 v49, v45, v46 op_sel:[0,0,1]              // 000000005198: D2A24031 00025D2D
	v_accvgpr_write_b32 a42, v48                               // 0000000051A0: D3D9402A 18000130
	v_accvgpr_write_b32 a43, v49                               // 0000000051A8: D3D9402B 18000131
	s_nop 3                                                    // 0000000051B0: BF800003
	v_mfma_f32_16x16x32_fp8_fp8 v[64:67], a[42:43], v[186:187], v[64:67]// 0000000051B4: D3F30040 0D03752A
	v_accvgpr_read_b32 v44, a54                                // 0000000051BC: D3D8402C 18000136
	v_cvt_off_f32_i4_e32 v45, v44                              // 0000000051C4: 7E5A1D2C
	v_cvt_off_f32_i4_sdwa v46, v44 dst_sel:DWORD dst_unused:UNUSED_PRESERVE src0_sel:BYTE_2// 0000000051C8: 7E5C1CF9 0002162C
	v_cvt_pk_fp8_f32 v48, v45, v46                             // 0000000051D0: D2A20030 00025D2D
	v_cvt_off_f32_i4_sdwa v45, v44 dst_sel:DWORD dst_unused:UNUSED_PRESERVE src0_sel:BYTE_1// 0000000051D8: 7E5A1CF9 0001162C
	v_cvt_off_f32_i4_sdwa v46, v44 dst_sel:DWORD dst_unused:UNUSED_PRESERVE src0_sel:BYTE_3// 0000000051E0: 7E5C1CF9 0003162C
	v_cvt_pk_fp8_f32 v49, v45, v46                             // 0000000051E8: D2A20031 00025D2D
	v_lshrrev_b32_e32 v47, 4, v44                              // 0000000051F0: 205E5884
	v_cvt_off_f32_i4_e32 v45, v47                              // 0000000051F4: 7E5A1D2F
	v_cvt_off_f32_i4_sdwa v46, v47 dst_sel:DWORD dst_unused:UNUSED_PRESERVE src0_sel:BYTE_2// 0000000051F8: 7E5C1CF9 0002162F
	v_cvt_pk_fp8_f32 v48, v45, v46 op_sel:[0,0,1]              // 000000005200: D2A24030 00025D2D
	v_cvt_off_f32_i4_sdwa v45, v47 dst_sel:DWORD dst_unused:UNUSED_PRESERVE src0_sel:BYTE_1// 000000005208: 7E5A1CF9 0001162F
	v_cvt_off_f32_i4_sdwa v46, v47 dst_sel:DWORD dst_unused:UNUSED_PRESERVE src0_sel:BYTE_3// 000000005210: 7E5C1CF9 0003162F
	v_cvt_pk_fp8_f32 v49, v45, v46 op_sel:[0,0,1]              // 000000005218: D2A24031 00025D2D
	v_accvgpr_write_b32 a44, v48                               // 000000005220: D3D9402C 18000130
	v_accvgpr_write_b32 a45, v49                               // 000000005228: D3D9402D 18000131
	s_nop 3                                                    // 000000005230: BF800003
	v_mfma_f32_16x16x32_fp8_fp8 v[64:67], a[44:45], v[188:189], v[64:67]// 000000005234: D3F30040 0D03792C
	v_accvgpr_read_b32 v44, a55                                // 00000000523C: D3D8402C 18000137
	v_cvt_off_f32_i4_e32 v45, v44                              // 000000005244: 7E5A1D2C
	v_cvt_off_f32_i4_sdwa v46, v44 dst_sel:DWORD dst_unused:UNUSED_PRESERVE src0_sel:BYTE_2// 000000005248: 7E5C1CF9 0002162C
	v_cvt_pk_fp8_f32 v48, v45, v46                             // 000000005250: D2A20030 00025D2D
	v_cvt_off_f32_i4_sdwa v45, v44 dst_sel:DWORD dst_unused:UNUSED_PRESERVE src0_sel:BYTE_1// 000000005258: 7E5A1CF9 0001162C
	v_cvt_off_f32_i4_sdwa v46, v44 dst_sel:DWORD dst_unused:UNUSED_PRESERVE src0_sel:BYTE_3// 000000005260: 7E5C1CF9 0003162C
	v_cvt_pk_fp8_f32 v49, v45, v46                             // 000000005268: D2A20031 00025D2D
	v_lshrrev_b32_e32 v47, 4, v44                              // 000000005270: 205E5884
	v_cvt_off_f32_i4_e32 v45, v47                              // 000000005274: 7E5A1D2F
	v_cvt_off_f32_i4_sdwa v46, v47 dst_sel:DWORD dst_unused:UNUSED_PRESERVE src0_sel:BYTE_2// 000000005278: 7E5C1CF9 0002162F
	v_cvt_pk_fp8_f32 v48, v45, v46 op_sel:[0,0,1]              // 000000005280: D2A24030 00025D2D
	v_cvt_off_f32_i4_sdwa v45, v47 dst_sel:DWORD dst_unused:UNUSED_PRESERVE src0_sel:BYTE_1// 000000005288: 7E5A1CF9 0001162F
	v_cvt_off_f32_i4_sdwa v46, v47 dst_sel:DWORD dst_unused:UNUSED_PRESERVE src0_sel:BYTE_3// 000000005290: 7E5C1CF9 0003162F
	v_cvt_pk_fp8_f32 v49, v45, v46 op_sel:[0,0,1]              // 000000005298: D2A24031 00025D2D
	v_accvgpr_write_b32 a46, v48                               // 0000000052A0: D3D9402E 18000130
	v_accvgpr_write_b32 a47, v49                               // 0000000052A8: D3D9402F 18000131
	s_nop 3                                                    // 0000000052B0: BF800003
	v_mfma_f32_16x16x32_fp8_fp8 v[64:67], a[46:47], v[190:191], v[64:67]// 0000000052B4: D3F30040 0D037D2E
	ds_read_b128 v[148:151], v2 offset:16                      // 0000000052BC: D9FE0010 94000002
	v_mfma_f32_16x16x32_fp8_fp8 v[68:71], a[32:33], v[192:193], v[68:71]// 0000000052C4: D3F30044 0D138120
	v_mfma_f32_16x16x32_fp8_fp8 v[68:71], a[34:35], v[194:195], v[68:71]// 0000000052CC: D3F30044 0D138522
	buffer_load_dwordx4 a[20:23], v32, s[24:27], 0 offen offset:1024// 0000000052D4: E05C1400 80861420
	v_mfma_f32_16x16x32_fp8_fp8 v[68:71], a[36:37], v[196:197], v[68:71]// 0000000052DC: D3F30044 0D138924
	v_mfma_f32_16x16x32_fp8_fp8 v[68:71], a[38:39], v[198:199], v[68:71]// 0000000052E4: D3F30044 0D138D26
	ds_read_b128 v[152:155], v2 offset:128                     // 0000000052EC: D9FE0080 98000002
	v_mfma_f32_16x16x32_fp8_fp8 v[68:71], a[40:41], v[200:201], v[68:71]// 0000000052F4: D3F30044 0D139128
	v_mfma_f32_16x16x32_fp8_fp8 v[68:71], a[42:43], v[202:203], v[68:71]// 0000000052FC: D3F30044 0D13952A
	v_mfma_f32_16x16x32_fp8_fp8 v[68:71], a[44:45], v[204:205], v[68:71]// 000000005304: D3F30044 0D13992C
	v_mfma_f32_16x16x32_fp8_fp8 v[68:71], a[46:47], v[206:207], v[68:71]// 00000000530C: D3F30044 0D139D2E
	ds_read_b128 v[156:159], v2 offset:144                     // 000000005314: D9FE0090 9C000002
	v_accvgpr_read_b32 v44, a56                                // 00000000531C: D3D8402C 18000138
	v_cvt_off_f32_i4_e32 v45, v44                              // 000000005324: 7E5A1D2C
	v_cvt_off_f32_i4_sdwa v46, v44 dst_sel:DWORD dst_unused:UNUSED_PRESERVE src0_sel:BYTE_2// 000000005328: 7E5C1CF9 0002162C
	v_cvt_pk_fp8_f32 v48, v45, v46                             // 000000005330: D2A20030 00025D2D
	v_cvt_off_f32_i4_sdwa v45, v44 dst_sel:DWORD dst_unused:UNUSED_PRESERVE src0_sel:BYTE_1// 000000005338: 7E5A1CF9 0001162C
	v_cvt_off_f32_i4_sdwa v46, v44 dst_sel:DWORD dst_unused:UNUSED_PRESERVE src0_sel:BYTE_3// 000000005340: 7E5C1CF9 0003162C
	v_cvt_pk_fp8_f32 v49, v45, v46                             // 000000005348: D2A20031 00025D2D
	v_lshrrev_b32_e32 v47, 4, v44                              // 000000005350: 205E5884
	v_cvt_off_f32_i4_e32 v45, v47                              // 000000005354: 7E5A1D2F
	v_cvt_off_f32_i4_sdwa v46, v47 dst_sel:DWORD dst_unused:UNUSED_PRESERVE src0_sel:BYTE_2// 000000005358: 7E5C1CF9 0002162F
	v_cvt_pk_fp8_f32 v48, v45, v46 op_sel:[0,0,1]              // 000000005360: D2A24030 00025D2D
	v_cvt_off_f32_i4_sdwa v45, v47 dst_sel:DWORD dst_unused:UNUSED_PRESERVE src0_sel:BYTE_1// 000000005368: 7E5A1CF9 0001162F
	v_cvt_off_f32_i4_sdwa v46, v47 dst_sel:DWORD dst_unused:UNUSED_PRESERVE src0_sel:BYTE_3// 000000005370: 7E5C1CF9 0003162F
	v_cvt_pk_fp8_f32 v49, v45, v46 op_sel:[0,0,1]              // 000000005378: D2A24031 00025D2D
	v_accvgpr_write_b32 a48, v48                               // 000000005380: D3D94030 18000130
	v_accvgpr_write_b32 a49, v49                               // 000000005388: D3D94031 18000131
	s_nop 3                                                    // 000000005390: BF800003
	v_mfma_f32_16x16x32_fp8_fp8 v[72:75], a[48:49], v[176:177], v[72:75]// 000000005394: D3F30048 0D236130
	v_accvgpr_read_b32 v44, a57                                // 00000000539C: D3D8402C 18000139
	v_cvt_off_f32_i4_e32 v45, v44                              // 0000000053A4: 7E5A1D2C
	v_cvt_off_f32_i4_sdwa v46, v44 dst_sel:DWORD dst_unused:UNUSED_PRESERVE src0_sel:BYTE_2// 0000000053A8: 7E5C1CF9 0002162C
	v_cvt_pk_fp8_f32 v48, v45, v46                             // 0000000053B0: D2A20030 00025D2D
	v_cvt_off_f32_i4_sdwa v45, v44 dst_sel:DWORD dst_unused:UNUSED_PRESERVE src0_sel:BYTE_1// 0000000053B8: 7E5A1CF9 0001162C
	v_cvt_off_f32_i4_sdwa v46, v44 dst_sel:DWORD dst_unused:UNUSED_PRESERVE src0_sel:BYTE_3// 0000000053C0: 7E5C1CF9 0003162C
	v_cvt_pk_fp8_f32 v49, v45, v46                             // 0000000053C8: D2A20031 00025D2D
	v_lshrrev_b32_e32 v47, 4, v44                              // 0000000053D0: 205E5884
	v_cvt_off_f32_i4_e32 v45, v47                              // 0000000053D4: 7E5A1D2F
	v_cvt_off_f32_i4_sdwa v46, v47 dst_sel:DWORD dst_unused:UNUSED_PRESERVE src0_sel:BYTE_2// 0000000053D8: 7E5C1CF9 0002162F
	v_cvt_pk_fp8_f32 v48, v45, v46 op_sel:[0,0,1]              // 0000000053E0: D2A24030 00025D2D
	v_cvt_off_f32_i4_sdwa v45, v47 dst_sel:DWORD dst_unused:UNUSED_PRESERVE src0_sel:BYTE_1// 0000000053E8: 7E5A1CF9 0001162F
	v_cvt_off_f32_i4_sdwa v46, v47 dst_sel:DWORD dst_unused:UNUSED_PRESERVE src0_sel:BYTE_3// 0000000053F0: 7E5C1CF9 0003162F
	v_cvt_pk_fp8_f32 v49, v45, v46 op_sel:[0,0,1]              // 0000000053F8: D2A24031 00025D2D
	v_accvgpr_write_b32 a50, v48                               // 000000005400: D3D94032 18000130
	v_accvgpr_write_b32 a51, v49                               // 000000005408: D3D94033 18000131
	s_nop 3                                                    // 000000005410: BF800003
	v_mfma_f32_16x16x32_fp8_fp8 v[72:75], a[50:51], v[178:179], v[72:75]// 000000005414: D3F30048 0D236532
	buffer_load_dwordx4 a[24:27], v33, s[24:27], 0 offen       // 00000000541C: E05C1000 80861821
	v_accvgpr_read_b32 v44, a58                                // 000000005424: D3D8402C 1800013A
	v_cvt_off_f32_i4_e32 v45, v44                              // 00000000542C: 7E5A1D2C
	v_cvt_off_f32_i4_sdwa v46, v44 dst_sel:DWORD dst_unused:UNUSED_PRESERVE src0_sel:BYTE_2// 000000005430: 7E5C1CF9 0002162C
	v_cvt_pk_fp8_f32 v48, v45, v46                             // 000000005438: D2A20030 00025D2D
	v_cvt_off_f32_i4_sdwa v45, v44 dst_sel:DWORD dst_unused:UNUSED_PRESERVE src0_sel:BYTE_1// 000000005440: 7E5A1CF9 0001162C
	v_cvt_off_f32_i4_sdwa v46, v44 dst_sel:DWORD dst_unused:UNUSED_PRESERVE src0_sel:BYTE_3// 000000005448: 7E5C1CF9 0003162C
	v_cvt_pk_fp8_f32 v49, v45, v46                             // 000000005450: D2A20031 00025D2D
	v_lshrrev_b32_e32 v47, 4, v44                              // 000000005458: 205E5884
	v_cvt_off_f32_i4_e32 v45, v47                              // 00000000545C: 7E5A1D2F
	v_cvt_off_f32_i4_sdwa v46, v47 dst_sel:DWORD dst_unused:UNUSED_PRESERVE src0_sel:BYTE_2// 000000005460: 7E5C1CF9 0002162F
	v_cvt_pk_fp8_f32 v48, v45, v46 op_sel:[0,0,1]              // 000000005468: D2A24030 00025D2D
	v_cvt_off_f32_i4_sdwa v45, v47 dst_sel:DWORD dst_unused:UNUSED_PRESERVE src0_sel:BYTE_1// 000000005470: 7E5A1CF9 0001162F
	v_cvt_off_f32_i4_sdwa v46, v47 dst_sel:DWORD dst_unused:UNUSED_PRESERVE src0_sel:BYTE_3// 000000005478: 7E5C1CF9 0003162F
	v_cvt_pk_fp8_f32 v49, v45, v46 op_sel:[0,0,1]              // 000000005480: D2A24031 00025D2D
	v_accvgpr_write_b32 a52, v48                               // 000000005488: D3D94034 18000130
	v_accvgpr_write_b32 a53, v49                               // 000000005490: D3D94035 18000131
	s_nop 3                                                    // 000000005498: BF800003
	v_mfma_f32_16x16x32_fp8_fp8 v[72:75], a[52:53], v[180:181], v[72:75]// 00000000549C: D3F30048 0D236934
	v_accvgpr_read_b32 v44, a59                                // 0000000054A4: D3D8402C 1800013B
	v_cvt_off_f32_i4_e32 v45, v44                              // 0000000054AC: 7E5A1D2C
	v_cvt_off_f32_i4_sdwa v46, v44 dst_sel:DWORD dst_unused:UNUSED_PRESERVE src0_sel:BYTE_2// 0000000054B0: 7E5C1CF9 0002162C
	v_cvt_pk_fp8_f32 v48, v45, v46                             // 0000000054B8: D2A20030 00025D2D
	v_cvt_off_f32_i4_sdwa v45, v44 dst_sel:DWORD dst_unused:UNUSED_PRESERVE src0_sel:BYTE_1// 0000000054C0: 7E5A1CF9 0001162C
	v_cvt_off_f32_i4_sdwa v46, v44 dst_sel:DWORD dst_unused:UNUSED_PRESERVE src0_sel:BYTE_3// 0000000054C8: 7E5C1CF9 0003162C
	v_cvt_pk_fp8_f32 v49, v45, v46                             // 0000000054D0: D2A20031 00025D2D
	v_lshrrev_b32_e32 v47, 4, v44                              // 0000000054D8: 205E5884
	v_cvt_off_f32_i4_e32 v45, v47                              // 0000000054DC: 7E5A1D2F
	v_cvt_off_f32_i4_sdwa v46, v47 dst_sel:DWORD dst_unused:UNUSED_PRESERVE src0_sel:BYTE_2// 0000000054E0: 7E5C1CF9 0002162F
	v_cvt_pk_fp8_f32 v48, v45, v46 op_sel:[0,0,1]              // 0000000054E8: D2A24030 00025D2D
	v_cvt_off_f32_i4_sdwa v45, v47 dst_sel:DWORD dst_unused:UNUSED_PRESERVE src0_sel:BYTE_1// 0000000054F0: 7E5A1CF9 0001162F
	v_cvt_off_f32_i4_sdwa v46, v47 dst_sel:DWORD dst_unused:UNUSED_PRESERVE src0_sel:BYTE_3// 0000000054F8: 7E5C1CF9 0003162F
	v_cvt_pk_fp8_f32 v49, v45, v46 op_sel:[0,0,1]              // 000000005500: D2A24031 00025D2D
	v_accvgpr_write_b32 a54, v48                               // 000000005508: D3D94036 18000130
	v_accvgpr_write_b32 a55, v49                               // 000000005510: D3D94037 18000131
	s_nop 3                                                    // 000000005518: BF800003
	v_mfma_f32_16x16x32_fp8_fp8 v[72:75], a[54:55], v[182:183], v[72:75]// 00000000551C: D3F30048 0D236D36
	ds_read_b128 v[160:163], v2 offset:1024                    // 000000005524: D9FE0400 A0000002
	v_accvgpr_read_b32 v44, a60                                // 00000000552C: D3D8402C 1800013C
	v_cvt_off_f32_i4_e32 v45, v44                              // 000000005534: 7E5A1D2C
	v_cvt_off_f32_i4_sdwa v46, v44 dst_sel:DWORD dst_unused:UNUSED_PRESERVE src0_sel:BYTE_2// 000000005538: 7E5C1CF9 0002162C
	v_cvt_pk_fp8_f32 v48, v45, v46                             // 000000005540: D2A20030 00025D2D
	v_cvt_off_f32_i4_sdwa v45, v44 dst_sel:DWORD dst_unused:UNUSED_PRESERVE src0_sel:BYTE_1// 000000005548: 7E5A1CF9 0001162C
	v_cvt_off_f32_i4_sdwa v46, v44 dst_sel:DWORD dst_unused:UNUSED_PRESERVE src0_sel:BYTE_3// 000000005550: 7E5C1CF9 0003162C
	v_cvt_pk_fp8_f32 v49, v45, v46                             // 000000005558: D2A20031 00025D2D
	v_lshrrev_b32_e32 v47, 4, v44                              // 000000005560: 205E5884
	v_cvt_off_f32_i4_e32 v45, v47                              // 000000005564: 7E5A1D2F
	v_cvt_off_f32_i4_sdwa v46, v47 dst_sel:DWORD dst_unused:UNUSED_PRESERVE src0_sel:BYTE_2// 000000005568: 7E5C1CF9 0002162F
	v_cvt_pk_fp8_f32 v48, v45, v46 op_sel:[0,0,1]              // 000000005570: D2A24030 00025D2D
	v_cvt_off_f32_i4_sdwa v45, v47 dst_sel:DWORD dst_unused:UNUSED_PRESERVE src0_sel:BYTE_1// 000000005578: 7E5A1CF9 0001162F
	v_cvt_off_f32_i4_sdwa v46, v47 dst_sel:DWORD dst_unused:UNUSED_PRESERVE src0_sel:BYTE_3// 000000005580: 7E5C1CF9 0003162F
	v_cvt_pk_fp8_f32 v49, v45, v46 op_sel:[0,0,1]              // 000000005588: D2A24031 00025D2D
	v_accvgpr_write_b32 a56, v48                               // 000000005590: D3D94038 18000130
	v_accvgpr_write_b32 a57, v49                               // 000000005598: D3D94039 18000131
	s_nop 3                                                    // 0000000055A0: BF800003
	v_mfma_f32_16x16x32_fp8_fp8 v[72:75], a[56:57], v[184:185], v[72:75]// 0000000055A4: D3F30048 0D237138
	v_accvgpr_read_b32 v44, a61                                // 0000000055AC: D3D8402C 1800013D
	v_cvt_off_f32_i4_e32 v45, v44                              // 0000000055B4: 7E5A1D2C
	v_cvt_off_f32_i4_sdwa v46, v44 dst_sel:DWORD dst_unused:UNUSED_PRESERVE src0_sel:BYTE_2// 0000000055B8: 7E5C1CF9 0002162C
	v_cvt_pk_fp8_f32 v48, v45, v46                             // 0000000055C0: D2A20030 00025D2D
	v_cvt_off_f32_i4_sdwa v45, v44 dst_sel:DWORD dst_unused:UNUSED_PRESERVE src0_sel:BYTE_1// 0000000055C8: 7E5A1CF9 0001162C
	v_cvt_off_f32_i4_sdwa v46, v44 dst_sel:DWORD dst_unused:UNUSED_PRESERVE src0_sel:BYTE_3// 0000000055D0: 7E5C1CF9 0003162C
	v_cvt_pk_fp8_f32 v49, v45, v46                             // 0000000055D8: D2A20031 00025D2D
	v_lshrrev_b32_e32 v47, 4, v44                              // 0000000055E0: 205E5884
	v_cvt_off_f32_i4_e32 v45, v47                              // 0000000055E4: 7E5A1D2F
	v_cvt_off_f32_i4_sdwa v46, v47 dst_sel:DWORD dst_unused:UNUSED_PRESERVE src0_sel:BYTE_2// 0000000055E8: 7E5C1CF9 0002162F
	v_cvt_pk_fp8_f32 v48, v45, v46 op_sel:[0,0,1]              // 0000000055F0: D2A24030 00025D2D
	v_cvt_off_f32_i4_sdwa v45, v47 dst_sel:DWORD dst_unused:UNUSED_PRESERVE src0_sel:BYTE_1// 0000000055F8: 7E5A1CF9 0001162F
	v_cvt_off_f32_i4_sdwa v46, v47 dst_sel:DWORD dst_unused:UNUSED_PRESERVE src0_sel:BYTE_3// 000000005600: 7E5C1CF9 0003162F
	v_cvt_pk_fp8_f32 v49, v45, v46 op_sel:[0,0,1]              // 000000005608: D2A24031 00025D2D
	v_accvgpr_write_b32 a58, v48                               // 000000005610: D3D9403A 18000130
	v_accvgpr_write_b32 a59, v49                               // 000000005618: D3D9403B 18000131
	s_nop 3                                                    // 000000005620: BF800003
	v_mfma_f32_16x16x32_fp8_fp8 v[72:75], a[58:59], v[186:187], v[72:75]// 000000005624: D3F30048 0D23753A
	v_accvgpr_read_b32 v44, a62                                // 00000000562C: D3D8402C 1800013E
	v_cvt_off_f32_i4_e32 v45, v44                              // 000000005634: 7E5A1D2C
	v_cvt_off_f32_i4_sdwa v46, v44 dst_sel:DWORD dst_unused:UNUSED_PRESERVE src0_sel:BYTE_2// 000000005638: 7E5C1CF9 0002162C
	v_cvt_pk_fp8_f32 v48, v45, v46                             // 000000005640: D2A20030 00025D2D
	v_cvt_off_f32_i4_sdwa v45, v44 dst_sel:DWORD dst_unused:UNUSED_PRESERVE src0_sel:BYTE_1// 000000005648: 7E5A1CF9 0001162C
	v_cvt_off_f32_i4_sdwa v46, v44 dst_sel:DWORD dst_unused:UNUSED_PRESERVE src0_sel:BYTE_3// 000000005650: 7E5C1CF9 0003162C
	v_cvt_pk_fp8_f32 v49, v45, v46                             // 000000005658: D2A20031 00025D2D
	v_lshrrev_b32_e32 v47, 4, v44                              // 000000005660: 205E5884
	v_cvt_off_f32_i4_e32 v45, v47                              // 000000005664: 7E5A1D2F
	v_cvt_off_f32_i4_sdwa v46, v47 dst_sel:DWORD dst_unused:UNUSED_PRESERVE src0_sel:BYTE_2// 000000005668: 7E5C1CF9 0002162F
	v_cvt_pk_fp8_f32 v48, v45, v46 op_sel:[0,0,1]              // 000000005670: D2A24030 00025D2D
	v_cvt_off_f32_i4_sdwa v45, v47 dst_sel:DWORD dst_unused:UNUSED_PRESERVE src0_sel:BYTE_1// 000000005678: 7E5A1CF9 0001162F
	v_cvt_off_f32_i4_sdwa v46, v47 dst_sel:DWORD dst_unused:UNUSED_PRESERVE src0_sel:BYTE_3// 000000005680: 7E5C1CF9 0003162F
	v_cvt_pk_fp8_f32 v49, v45, v46 op_sel:[0,0,1]              // 000000005688: D2A24031 00025D2D
	v_accvgpr_write_b32 a60, v48                               // 000000005690: D3D9403C 18000130
	v_accvgpr_write_b32 a61, v49                               // 000000005698: D3D9403D 18000131
	s_nop 3                                                    // 0000000056A0: BF800003
	v_mfma_f32_16x16x32_fp8_fp8 v[72:75], a[60:61], v[188:189], v[72:75]// 0000000056A4: D3F30048 0D23793C
	v_accvgpr_read_b32 v44, a63                                // 0000000056AC: D3D8402C 1800013F
	v_cvt_off_f32_i4_e32 v45, v44                              // 0000000056B4: 7E5A1D2C
	v_cvt_off_f32_i4_sdwa v46, v44 dst_sel:DWORD dst_unused:UNUSED_PRESERVE src0_sel:BYTE_2// 0000000056B8: 7E5C1CF9 0002162C
	v_cvt_pk_fp8_f32 v48, v45, v46                             // 0000000056C0: D2A20030 00025D2D
	v_cvt_off_f32_i4_sdwa v45, v44 dst_sel:DWORD dst_unused:UNUSED_PRESERVE src0_sel:BYTE_1// 0000000056C8: 7E5A1CF9 0001162C
	v_cvt_off_f32_i4_sdwa v46, v44 dst_sel:DWORD dst_unused:UNUSED_PRESERVE src0_sel:BYTE_3// 0000000056D0: 7E5C1CF9 0003162C
	v_cvt_pk_fp8_f32 v49, v45, v46                             // 0000000056D8: D2A20031 00025D2D
	v_lshrrev_b32_e32 v47, 4, v44                              // 0000000056E0: 205E5884
	v_cvt_off_f32_i4_e32 v45, v47                              // 0000000056E4: 7E5A1D2F
	v_cvt_off_f32_i4_sdwa v46, v47 dst_sel:DWORD dst_unused:UNUSED_PRESERVE src0_sel:BYTE_2// 0000000056E8: 7E5C1CF9 0002162F
	v_cvt_pk_fp8_f32 v48, v45, v46 op_sel:[0,0,1]              // 0000000056F0: D2A24030 00025D2D
	v_cvt_off_f32_i4_sdwa v45, v47 dst_sel:DWORD dst_unused:UNUSED_PRESERVE src0_sel:BYTE_1// 0000000056F8: 7E5A1CF9 0001162F
	v_cvt_off_f32_i4_sdwa v46, v47 dst_sel:DWORD dst_unused:UNUSED_PRESERVE src0_sel:BYTE_3// 000000005700: 7E5C1CF9 0003162F
	v_cvt_pk_fp8_f32 v49, v45, v46 op_sel:[0,0,1]              // 000000005708: D2A24031 00025D2D
	v_accvgpr_write_b32 a62, v48                               // 000000005710: D3D9403E 18000130
	v_accvgpr_write_b32 a63, v49                               // 000000005718: D3D9403F 18000131
	s_nop 3                                                    // 000000005720: BF800003
	v_mfma_f32_16x16x32_fp8_fp8 v[72:75], a[62:63], v[190:191], v[72:75]// 000000005724: D3F30048 0D237D3E
	ds_read_b128 v[164:167], v2 offset:1040                    // 00000000572C: D9FE0410 A4000002
	v_mfma_f32_16x16x32_fp8_fp8 v[76:79], a[48:49], v[192:193], v[76:79]// 000000005734: D3F3004C 0D338130
	v_mfma_f32_16x16x32_fp8_fp8 v[76:79], a[50:51], v[194:195], v[76:79]// 00000000573C: D3F3004C 0D338532
	buffer_load_dwordx4 a[28:31], v33, s[24:27], 0 offen offset:1024// 000000005744: E05C1400 80861C21
	v_mfma_f32_16x16x32_fp8_fp8 v[76:79], a[52:53], v[196:197], v[76:79]// 00000000574C: D3F3004C 0D338934
	v_mfma_f32_16x16x32_fp8_fp8 v[76:79], a[54:55], v[198:199], v[76:79]// 000000005754: D3F3004C 0D338D36
	ds_read_b128 v[168:171], v2 offset:1152                    // 00000000575C: D9FE0480 A8000002
	v_mfma_f32_16x16x32_fp8_fp8 v[76:79], a[56:57], v[200:201], v[76:79]// 000000005764: D3F3004C 0D339138
	v_mfma_f32_16x16x32_fp8_fp8 v[76:79], a[58:59], v[202:203], v[76:79]// 00000000576C: D3F3004C 0D33953A
	v_mfma_f32_16x16x32_fp8_fp8 v[76:79], a[60:61], v[204:205], v[76:79]// 000000005774: D3F3004C 0D33993C
	v_mfma_f32_16x16x32_fp8_fp8 v[76:79], a[62:63], v[206:207], v[76:79]// 00000000577C: D3F3004C 0D339D3E
	ds_read_b128 v[172:175], v2 offset:1168                    // 000000005784: D9FE0490 AC000002
	s_add_u32 s60, 0x200, s80                                  // 00000000578C: 803C50FF 00000200
	s_cmp_lt_u32 s60, s81                                      // 000000005794: BF0A513C
	s_cselect_b32 s57, s57, 0                                  // 000000005798: 85398039
	s_add_u32 s60, 0x200, s80                                  // 00000000579C: 803C50FF 00000200
	s_cmp_lt_u32 s60, s81                                      // 0000000057A4: BF0A513C
	s_cselect_b32 s58, s58, 0                                  // 0000000057A8: 853A803A
	s_add_u32 s20, s57, s20                                    // 0000000057AC: 80141439
	s_addc_u32 s21, 0, s21                                     // 0000000057B0: 82151580
	s_add_u32 s24, s58, s24                                    // 0000000057B4: 8018183A
	s_addc_u32 s25, 0, s25                                     // 0000000057B8: 82191980
	s_add_u32 s92, s90, s92                                    // 0000000057BC: 805C5C5A
	s_addc_u32 s93, 0, s93                                     // 0000000057C0: 825D5D80
	s_addk_i32 s80, 0x100                                      // 0000000057C4: B7500100
	s_cmp_lt_i32 s80, s81                                      // 0000000057C8: BF045150
	s_cbranch_scc0 label_0B35                                  // 0000000057CC: BF840001
	s_branch label_020C                                        // 0000000057D0: BF82F6D7

00000000000057d4 <label_0B35>:
	s_mov_b32 s36, -1                                          // 0000000057D4: BEA400C1
	s_mov_b32 s37, -1                                          // 0000000057D8: BEA500C1
	s_mov_b64 s[60:61], 0                                      // 0000000057DC: BEBC0180
	s_cmp_lt_u32 s82, s66                                      // 0000000057E0: BF0A4252
	s_cselect_b64 s[20:21], s[36:37], s[60:61]                 // 0000000057E4: 85943C24
	s_cmp_lt_u32 s83, s66                                      // 0000000057E8: BF0A4253
	s_cselect_b64 s[22:23], s[36:37], s[60:61]                 // 0000000057EC: 85963C24
	s_cmp_lt_u32 s84, s66                                      // 0000000057F0: BF0A4254
	s_cselect_b64 s[24:25], s[36:37], s[60:61]                 // 0000000057F4: 85983C24
	s_cmp_lt_u32 s85, s66                                      // 0000000057F8: BF0A4255
	s_cselect_b64 s[26:27], s[36:37], s[60:61]                 // 0000000057FC: 859A3C24
	s_cmp_lt_u32 s86, s66                                      // 000000005800: BF0A4256
	s_cselect_b64 s[28:29], s[36:37], s[60:61]                 // 000000005804: 859C3C24
	s_cmp_lt_u32 s87, s66                                      // 000000005808: BF0A4257
	s_cselect_b64 s[30:31], s[36:37], s[60:61]                 // 00000000580C: 859E3C24
	s_cmp_lt_u32 s88, s66                                      // 000000005810: BF0A4258
	s_cselect_b64 s[32:33], s[36:37], s[60:61]                 // 000000005814: 85A03C24
	s_cmp_lt_u32 s89, s66                                      // 000000005818: BF0A4259
	s_cselect_b64 s[34:35], s[36:37], s[60:61]                 // 00000000581C: 85A23C24
	v_mul_f32_e32 v128, v13, v128                              // 000000005820: 0B01010D
	v_mul_f32_e32 v128, 0x41800000, v128                       // 000000005824: 0B0100FF 41800000
	v_mul_f32_e32 v129, v13, v129                              // 00000000582C: 0B03030D
	v_mul_f32_e32 v129, 0x41800000, v129                       // 000000005830: 0B0302FF 41800000
	v_mul_f32_e32 v130, v13, v130                              // 000000005838: 0B05050D
	v_mul_f32_e32 v130, 0x41800000, v130                       // 00000000583C: 0B0504FF 41800000
	v_mul_f32_e32 v131, v13, v131                              // 000000005844: 0B07070D
	v_mul_f32_e32 v131, 0x41800000, v131                       // 000000005848: 0B0706FF 41800000
	v_mul_f32_dpp v128, v15, v128 row_newbcast:0 row_mask:0xf bank_mask:0xf// 000000005850: 0B0100FA FF01500F
	v_mul_f32_dpp v129, v15, v129 row_newbcast:1 row_mask:0xf bank_mask:0xf// 000000005858: 0B0302FA FF01510F
	v_mul_f32_dpp v130, v15, v130 row_newbcast:2 row_mask:0xf bank_mask:0xf// 000000005860: 0B0504FA FF01520F
	v_mul_f32_dpp v131, v15, v131 row_newbcast:3 row_mask:0xf bank_mask:0xf// 000000005868: 0B0706FA FF01530F
	v_mul_f32_e32 v132, v14, v132                              // 000000005870: 0B09090E
	v_mul_f32_e32 v132, 0x41800000, v132                       // 000000005874: 0B0908FF 41800000
	v_mul_f32_e32 v133, v14, v133                              // 00000000587C: 0B0B0B0E
	v_mul_f32_e32 v133, 0x41800000, v133                       // 000000005880: 0B0B0AFF 41800000
	v_mul_f32_e32 v134, v14, v134                              // 000000005888: 0B0D0D0E
	v_mul_f32_e32 v134, 0x41800000, v134                       // 00000000588C: 0B0D0CFF 41800000
	v_mul_f32_e32 v135, v14, v135                              // 000000005894: 0B0F0F0E
	v_mul_f32_e32 v135, 0x41800000, v135                       // 000000005898: 0B0F0EFF 41800000
	v_mul_f32_dpp v132, v15, v132 row_newbcast:0 row_mask:0xf bank_mask:0xf// 0000000058A0: 0B0908FA FF01500F
	v_mul_f32_dpp v133, v15, v133 row_newbcast:1 row_mask:0xf bank_mask:0xf// 0000000058A8: 0B0B0AFA FF01510F
	v_mul_f32_dpp v134, v15, v134 row_newbcast:2 row_mask:0xf bank_mask:0xf// 0000000058B0: 0B0D0CFA FF01520F
	v_mul_f32_dpp v135, v15, v135 row_newbcast:3 row_mask:0xf bank_mask:0xf// 0000000058B8: 0B0F0EFA FF01530F
	v_mul_f32_e32 v136, v13, v136                              // 0000000058C0: 0B11110D
	v_mul_f32_e32 v136, 0x41800000, v136                       // 0000000058C4: 0B1110FF 41800000
	v_mul_f32_e32 v137, v13, v137                              // 0000000058CC: 0B13130D
	v_mul_f32_e32 v137, 0x41800000, v137                       // 0000000058D0: 0B1312FF 41800000
	v_mul_f32_e32 v138, v13, v138                              // 0000000058D8: 0B15150D
	v_mul_f32_e32 v138, 0x41800000, v138                       // 0000000058DC: 0B1514FF 41800000
	v_mul_f32_e32 v139, v13, v139                              // 0000000058E4: 0B17170D
	v_mul_f32_e32 v139, 0x41800000, v139                       // 0000000058E8: 0B1716FF 41800000
	v_mul_f32_dpp v136, v15, v136 row_newbcast:4 row_mask:0xf bank_mask:0xf// 0000000058F0: 0B1110FA FF01540F
	v_mul_f32_dpp v137, v15, v137 row_newbcast:5 row_mask:0xf bank_mask:0xf// 0000000058F8: 0B1312FA FF01550F
	v_mul_f32_dpp v138, v15, v138 row_newbcast:6 row_mask:0xf bank_mask:0xf// 000000005900: 0B1514FA FF01560F
	v_mul_f32_dpp v139, v15, v139 row_newbcast:7 row_mask:0xf bank_mask:0xf// 000000005908: 0B1716FA FF01570F
	v_mul_f32_e32 v140, v14, v140                              // 000000005910: 0B19190E
	v_mul_f32_e32 v140, 0x41800000, v140                       // 000000005914: 0B1918FF 41800000
	v_mul_f32_e32 v141, v14, v141                              // 00000000591C: 0B1B1B0E
	v_mul_f32_e32 v141, 0x41800000, v141                       // 000000005920: 0B1B1AFF 41800000
	v_mul_f32_e32 v142, v14, v142                              // 000000005928: 0B1D1D0E
	v_mul_f32_e32 v142, 0x41800000, v142                       // 00000000592C: 0B1D1CFF 41800000
	v_mul_f32_e32 v143, v14, v143                              // 000000005934: 0B1F1F0E
	v_mul_f32_e32 v143, 0x41800000, v143                       // 000000005938: 0B1F1EFF 41800000
	v_mul_f32_dpp v140, v15, v140 row_newbcast:4 row_mask:0xf bank_mask:0xf// 000000005940: 0B1918FA FF01540F
	v_mul_f32_dpp v141, v15, v141 row_newbcast:5 row_mask:0xf bank_mask:0xf// 000000005948: 0B1B1AFA FF01550F
	v_mul_f32_dpp v142, v15, v142 row_newbcast:6 row_mask:0xf bank_mask:0xf// 000000005950: 0B1D1CFA FF01560F
	v_mul_f32_dpp v143, v15, v143 row_newbcast:7 row_mask:0xf bank_mask:0xf// 000000005958: 0B1F1EFA FF01570F
	v_mul_f32_e32 v64, v13, v64                                // 000000005960: 0A80810D
	v_mul_f32_e32 v64, 0x41800000, v64                         // 000000005964: 0A8080FF 41800000
	v_mul_f32_e32 v65, v13, v65                                // 00000000596C: 0A82830D
	v_mul_f32_e32 v65, 0x41800000, v65                         // 000000005970: 0A8282FF 41800000
	v_mul_f32_e32 v66, v13, v66                                // 000000005978: 0A84850D
	v_mul_f32_e32 v66, 0x41800000, v66                         // 00000000597C: 0A8484FF 41800000
	v_mul_f32_e32 v67, v13, v67                                // 000000005984: 0A86870D
	v_mul_f32_e32 v67, 0x41800000, v67                         // 000000005988: 0A8686FF 41800000
	v_mul_f32_dpp v64, v42, v64 row_newbcast:0 row_mask:0xf bank_mask:0xf// 000000005990: 0A8080FA FF01502A
	v_mul_f32_dpp v65, v42, v65 row_newbcast:1 row_mask:0xf bank_mask:0xf// 000000005998: 0A8282FA FF01512A
	v_mul_f32_dpp v66, v42, v66 row_newbcast:2 row_mask:0xf bank_mask:0xf// 0000000059A0: 0A8484FA FF01522A
	v_mul_f32_dpp v67, v42, v67 row_newbcast:3 row_mask:0xf bank_mask:0xf// 0000000059A8: 0A8686FA FF01532A
	v_mul_f32_e32 v68, v14, v68                                // 0000000059B0: 0A88890E
	v_mul_f32_e32 v68, 0x41800000, v68                         // 0000000059B4: 0A8888FF 41800000
	v_mul_f32_e32 v69, v14, v69                                // 0000000059BC: 0A8A8B0E
	v_mul_f32_e32 v69, 0x41800000, v69                         // 0000000059C0: 0A8A8AFF 41800000
	v_mul_f32_e32 v70, v14, v70                                // 0000000059C8: 0A8C8D0E
	v_mul_f32_e32 v70, 0x41800000, v70                         // 0000000059CC: 0A8C8CFF 41800000
	v_mul_f32_e32 v71, v14, v71                                // 0000000059D4: 0A8E8F0E
	v_mul_f32_e32 v71, 0x41800000, v71                         // 0000000059D8: 0A8E8EFF 41800000
	v_mul_f32_dpp v68, v42, v68 row_newbcast:0 row_mask:0xf bank_mask:0xf// 0000000059E0: 0A8888FA FF01502A
	v_mul_f32_dpp v69, v42, v69 row_newbcast:1 row_mask:0xf bank_mask:0xf// 0000000059E8: 0A8A8AFA FF01512A
	v_mul_f32_dpp v70, v42, v70 row_newbcast:2 row_mask:0xf bank_mask:0xf// 0000000059F0: 0A8C8CFA FF01522A
	v_mul_f32_dpp v71, v42, v71 row_newbcast:3 row_mask:0xf bank_mask:0xf// 0000000059F8: 0A8E8EFA FF01532A
	v_mul_f32_e32 v72, v13, v72                                // 000000005A00: 0A90910D
	v_mul_f32_e32 v72, 0x41800000, v72                         // 000000005A04: 0A9090FF 41800000
	v_mul_f32_e32 v73, v13, v73                                // 000000005A0C: 0A92930D
	v_mul_f32_e32 v73, 0x41800000, v73                         // 000000005A10: 0A9292FF 41800000
	v_mul_f32_e32 v74, v13, v74                                // 000000005A18: 0A94950D
	v_mul_f32_e32 v74, 0x41800000, v74                         // 000000005A1C: 0A9494FF 41800000
	v_mul_f32_e32 v75, v13, v75                                // 000000005A24: 0A96970D
	v_mul_f32_e32 v75, 0x41800000, v75                         // 000000005A28: 0A9696FF 41800000
	v_mul_f32_dpp v72, v42, v72 row_newbcast:4 row_mask:0xf bank_mask:0xf// 000000005A30: 0A9090FA FF01542A
	v_mul_f32_dpp v73, v42, v73 row_newbcast:5 row_mask:0xf bank_mask:0xf// 000000005A38: 0A9292FA FF01552A
	v_mul_f32_dpp v74, v42, v74 row_newbcast:6 row_mask:0xf bank_mask:0xf// 000000005A40: 0A9494FA FF01562A
	v_mul_f32_dpp v75, v42, v75 row_newbcast:7 row_mask:0xf bank_mask:0xf// 000000005A48: 0A9696FA FF01572A
	v_mul_f32_e32 v76, v14, v76                                // 000000005A50: 0A98990E
	v_mul_f32_e32 v76, 0x41800000, v76                         // 000000005A54: 0A9898FF 41800000
	v_mul_f32_e32 v77, v14, v77                                // 000000005A5C: 0A9A9B0E
	v_mul_f32_e32 v77, 0x41800000, v77                         // 000000005A60: 0A9A9AFF 41800000
	v_mul_f32_e32 v78, v14, v78                                // 000000005A68: 0A9C9D0E
	v_mul_f32_e32 v78, 0x41800000, v78                         // 000000005A6C: 0A9C9CFF 41800000
	v_mul_f32_e32 v79, v14, v79                                // 000000005A74: 0A9E9F0E
	v_mul_f32_e32 v79, 0x41800000, v79                         // 000000005A78: 0A9E9EFF 41800000
	v_mul_f32_dpp v76, v42, v76 row_newbcast:4 row_mask:0xf bank_mask:0xf// 000000005A80: 0A9898FA FF01542A
	v_mul_f32_dpp v77, v42, v77 row_newbcast:5 row_mask:0xf bank_mask:0xf// 000000005A88: 0A9A9AFA FF01552A
	v_mul_f32_dpp v78, v42, v78 row_newbcast:6 row_mask:0xf bank_mask:0xf// 000000005A90: 0A9C9CFA FF01562A
	v_mul_f32_dpp v79, v42, v79 row_newbcast:7 row_mask:0xf bank_mask:0xf// 000000005A98: 0A9E9EFA FF01572A
	s_waitcnt vmcnt(2)                                         // 000000005AA0: BF8C0F72
	buffer_load_dwordx4 a[16:19], v34, s[12:15], 0 offen       // 000000005AA4: E05C1000 80831022
	v_mul_f32_e32 v44, v128, v128                              // 000000005AAC: 0A590180
	v_mul_f32_e32 v45, v129, v129                              // 000000005AB0: 0A5B0381
	v_mul_f32_e32 v46, v130, v130                              // 000000005AB4: 0A5D0582
	v_mul_f32_e32 v47, v131, v131                              // 000000005AB8: 0A5F0783
	v_fma_f32 v44, v44, s77, v1                                // 000000005ABC: D1CB002C 04049B2C
	v_fma_f32 v45, v45, s77, v1                                // 000000005AC4: D1CB002D 04049B2D
	v_fma_f32 v46, v46, s77, v1                                // 000000005ACC: D1CB002E 04049B2E
	v_fma_f32 v47, v47, s77, v1                                // 000000005AD4: D1CB002F 04049B2F
	v_mul_f32_e32 v44, v44, v128                               // 000000005ADC: 0A59012C
	v_mul_f32_e32 v45, v45, v129                               // 000000005AE0: 0A5B032D
	v_mul_f32_e32 v46, v46, v130                               // 000000005AE4: 0A5D052E
	v_mul_f32_e32 v47, v47, v131                               // 000000005AE8: 0A5F072F
	v_mul_f32_e64 v44, v44, s6                                 // 000000005AEC: D105002C 00000D2C
	v_mul_f32_e64 v45, v45, s6                                 // 000000005AF4: D105002D 00000D2D
	v_mul_f32_e64 v46, v46, s6                                 // 000000005AFC: D105002E 00000D2E
	v_mul_f32_e64 v47, v47, s6                                 // 000000005B04: D105002F 00000D2F
	v_exp_f32_e32 v44, v44                                     // 000000005B0C: 7E58412C
	v_exp_f32_e32 v45, v45                                     // 000000005B10: 7E5A412D
	v_exp_f32_e32 v46, v46                                     // 000000005B14: 7E5C412E
	v_exp_f32_e32 v47, v47                                     // 000000005B18: 7E5E412F
	v_add_f32_e64 v44, v44, 1.0                                // 000000005B1C: D101002C 0001E52C
	v_add_f32_e64 v45, v45, 1.0                                // 000000005B24: D101002D 0001E52D
	v_add_f32_e64 v46, v46, 1.0                                // 000000005B2C: D101002E 0001E52E
	v_add_f32_e64 v47, v47, 1.0                                // 000000005B34: D101002F 0001E52F
	v_rcp_f32_e32 v44, v44                                     // 000000005B3C: 7E58452C
	v_rcp_f32_e32 v45, v45                                     // 000000005B40: 7E5A452D
	v_rcp_f32_e32 v46, v46                                     // 000000005B44: 7E5C452E
	v_rcp_f32_e32 v47, v47                                     // 000000005B48: 7E5E452F
	v_mul_f32_e32 v128, v128, v44                              // 000000005B4C: 0B005980
	v_mul_f32_e32 v129, v129, v45                              // 000000005B50: 0B025B81
	v_mul_f32_e32 v130, v130, v46                              // 000000005B54: 0B045D82
	v_mul_f32_e32 v131, v131, v47                              // 000000005B58: 0B065F83
	v_mul_f32_e32 v128, v128, v64                              // 000000005B5C: 0B008180
	v_mul_f32_e32 v129, v129, v65                              // 000000005B60: 0B028381
	v_mul_f32_e32 v130, v130, v66                              // 000000005B64: 0B048582
	v_mul_f32_e32 v131, v131, v67                              // 000000005B68: 0B068783
	buffer_load_dwordx4 a[20:23], v35, s[12:15], 0 offen       // 000000005B6C: E05C1000 80831423
	v_mul_f32_e32 v44, v132, v132                              // 000000005B74: 0A590984
	v_mul_f32_e32 v45, v133, v133                              // 000000005B78: 0A5B0B85
	v_mul_f32_e32 v46, v134, v134                              // 000000005B7C: 0A5D0D86
	v_mul_f32_e32 v47, v135, v135                              // 000000005B80: 0A5F0F87
	v_fma_f32 v44, v44, s77, v1                                // 000000005B84: D1CB002C 04049B2C
	v_fma_f32 v45, v45, s77, v1                                // 000000005B8C: D1CB002D 04049B2D
	v_fma_f32 v46, v46, s77, v1                                // 000000005B94: D1CB002E 04049B2E
	v_fma_f32 v47, v47, s77, v1                                // 000000005B9C: D1CB002F 04049B2F
	v_mul_f32_e32 v44, v44, v132                               // 000000005BA4: 0A59092C
	v_mul_f32_e32 v45, v45, v133                               // 000000005BA8: 0A5B0B2D
	v_mul_f32_e32 v46, v46, v134                               // 000000005BAC: 0A5D0D2E
	v_mul_f32_e32 v47, v47, v135                               // 000000005BB0: 0A5F0F2F
	v_mul_f32_e64 v44, v44, s6                                 // 000000005BB4: D105002C 00000D2C
	v_mul_f32_e64 v45, v45, s6                                 // 000000005BBC: D105002D 00000D2D
	v_mul_f32_e64 v46, v46, s6                                 // 000000005BC4: D105002E 00000D2E
	v_mul_f32_e64 v47, v47, s6                                 // 000000005BCC: D105002F 00000D2F
	v_exp_f32_e32 v44, v44                                     // 000000005BD4: 7E58412C
	v_exp_f32_e32 v45, v45                                     // 000000005BD8: 7E5A412D
	v_exp_f32_e32 v46, v46                                     // 000000005BDC: 7E5C412E
	v_exp_f32_e32 v47, v47                                     // 000000005BE0: 7E5E412F
	v_add_f32_e64 v44, v44, 1.0                                // 000000005BE4: D101002C 0001E52C
	v_add_f32_e64 v45, v45, 1.0                                // 000000005BEC: D101002D 0001E52D
	v_add_f32_e64 v46, v46, 1.0                                // 000000005BF4: D101002E 0001E52E
	v_add_f32_e64 v47, v47, 1.0                                // 000000005BFC: D101002F 0001E52F
	v_rcp_f32_e32 v44, v44                                     // 000000005C04: 7E58452C
	v_rcp_f32_e32 v45, v45                                     // 000000005C08: 7E5A452D
	v_rcp_f32_e32 v46, v46                                     // 000000005C0C: 7E5C452E
	v_rcp_f32_e32 v47, v47                                     // 000000005C10: 7E5E452F
	v_mul_f32_e32 v132, v132, v44                              // 000000005C14: 0B085984
	v_mul_f32_e32 v133, v133, v45                              // 000000005C18: 0B0A5B85
	v_mul_f32_e32 v134, v134, v46                              // 000000005C1C: 0B0C5D86
	v_mul_f32_e32 v135, v135, v47                              // 000000005C20: 0B0E5F87
	v_mul_f32_e32 v132, v132, v68                              // 000000005C24: 0B088984
	v_mul_f32_e32 v133, v133, v69                              // 000000005C28: 0B0A8B85
	v_mul_f32_e32 v134, v134, v70                              // 000000005C2C: 0B0C8D86
	v_mul_f32_e32 v135, v135, v71                              // 000000005C30: 0B0E8F87
	s_waitcnt vmcnt(2)                                         // 000000005C34: BF8C0F72
	buffer_load_dwordx4 a[24:27], v36, s[12:15], 0 offen       // 000000005C38: E05C1000 80831824
	v_mul_f32_e32 v44, v136, v136                              // 000000005C40: 0A591188
	v_mul_f32_e32 v45, v137, v137                              // 000000005C44: 0A5B1389
	v_mul_f32_e32 v46, v138, v138                              // 000000005C48: 0A5D158A
	v_mul_f32_e32 v47, v139, v139                              // 000000005C4C: 0A5F178B
	v_fma_f32 v44, v44, s77, v1                                // 000000005C50: D1CB002C 04049B2C
	v_fma_f32 v45, v45, s77, v1                                // 000000005C58: D1CB002D 04049B2D
	v_fma_f32 v46, v46, s77, v1                                // 000000005C60: D1CB002E 04049B2E
	v_fma_f32 v47, v47, s77, v1                                // 000000005C68: D1CB002F 04049B2F
	v_mul_f32_e32 v44, v44, v136                               // 000000005C70: 0A59112C
	v_mul_f32_e32 v45, v45, v137                               // 000000005C74: 0A5B132D
	v_mul_f32_e32 v46, v46, v138                               // 000000005C78: 0A5D152E
	v_mul_f32_e32 v47, v47, v139                               // 000000005C7C: 0A5F172F
	v_mul_f32_e64 v44, v44, s6                                 // 000000005C80: D105002C 00000D2C
	v_mul_f32_e64 v45, v45, s6                                 // 000000005C88: D105002D 00000D2D
	v_mul_f32_e64 v46, v46, s6                                 // 000000005C90: D105002E 00000D2E
	v_mul_f32_e64 v47, v47, s6                                 // 000000005C98: D105002F 00000D2F
	v_exp_f32_e32 v44, v44                                     // 000000005CA0: 7E58412C
	v_exp_f32_e32 v45, v45                                     // 000000005CA4: 7E5A412D
	v_exp_f32_e32 v46, v46                                     // 000000005CA8: 7E5C412E
	v_exp_f32_e32 v47, v47                                     // 000000005CAC: 7E5E412F
	v_add_f32_e64 v44, v44, 1.0                                // 000000005CB0: D101002C 0001E52C
	v_add_f32_e64 v45, v45, 1.0                                // 000000005CB8: D101002D 0001E52D
	v_add_f32_e64 v46, v46, 1.0                                // 000000005CC0: D101002E 0001E52E
	v_add_f32_e64 v47, v47, 1.0                                // 000000005CC8: D101002F 0001E52F
	v_rcp_f32_e32 v44, v44                                     // 000000005CD0: 7E58452C
	v_rcp_f32_e32 v45, v45                                     // 000000005CD4: 7E5A452D
	v_rcp_f32_e32 v46, v46                                     // 000000005CD8: 7E5C452E
	v_rcp_f32_e32 v47, v47                                     // 000000005CDC: 7E5E452F
	v_mul_f32_e32 v136, v136, v44                              // 000000005CE0: 0B105988
	v_mul_f32_e32 v137, v137, v45                              // 000000005CE4: 0B125B89
	v_mul_f32_e32 v138, v138, v46                              // 000000005CE8: 0B145D8A
	v_mul_f32_e32 v139, v139, v47                              // 000000005CEC: 0B165F8B
	v_mul_f32_e32 v136, v136, v72                              // 000000005CF0: 0B109188
	v_mul_f32_e32 v137, v137, v73                              // 000000005CF4: 0B129389
	v_mul_f32_e32 v138, v138, v74                              // 000000005CF8: 0B14958A
	v_mul_f32_e32 v139, v139, v75                              // 000000005CFC: 0B16978B
	buffer_load_dwordx4 a[28:31], v37, s[12:15], 0 offen       // 000000005D00: E05C1000 80831C25
	v_mul_f32_e32 v44, v140, v140                              // 000000005D08: 0A59198C
	v_mul_f32_e32 v45, v141, v141                              // 000000005D0C: 0A5B1B8D
	v_mul_f32_e32 v46, v142, v142                              // 000000005D10: 0A5D1D8E
	v_mul_f32_e32 v47, v143, v143                              // 000000005D14: 0A5F1F8F
	v_fma_f32 v44, v44, s77, v1                                // 000000005D18: D1CB002C 04049B2C
	v_fma_f32 v45, v45, s77, v1                                // 000000005D20: D1CB002D 04049B2D
	v_fma_f32 v46, v46, s77, v1                                // 000000005D28: D1CB002E 04049B2E
	v_fma_f32 v47, v47, s77, v1                                // 000000005D30: D1CB002F 04049B2F
	v_mul_f32_e32 v44, v44, v140                               // 000000005D38: 0A59192C
	v_mul_f32_e32 v45, v45, v141                               // 000000005D3C: 0A5B1B2D
	v_mul_f32_e32 v46, v46, v142                               // 000000005D40: 0A5D1D2E
	v_mul_f32_e32 v47, v47, v143                               // 000000005D44: 0A5F1F2F
	v_mul_f32_e64 v44, v44, s6                                 // 000000005D48: D105002C 00000D2C
	v_mul_f32_e64 v45, v45, s6                                 // 000000005D50: D105002D 00000D2D
	v_mul_f32_e64 v46, v46, s6                                 // 000000005D58: D105002E 00000D2E
	v_mul_f32_e64 v47, v47, s6                                 // 000000005D60: D105002F 00000D2F
	v_exp_f32_e32 v44, v44                                     // 000000005D68: 7E58412C
	v_exp_f32_e32 v45, v45                                     // 000000005D6C: 7E5A412D
	v_exp_f32_e32 v46, v46                                     // 000000005D70: 7E5C412E
	v_exp_f32_e32 v47, v47                                     // 000000005D74: 7E5E412F
	v_add_f32_e64 v44, v44, 1.0                                // 000000005D78: D101002C 0001E52C
	v_add_f32_e64 v45, v45, 1.0                                // 000000005D80: D101002D 0001E52D
	v_add_f32_e64 v46, v46, 1.0                                // 000000005D88: D101002E 0001E52E
	v_add_f32_e64 v47, v47, 1.0                                // 000000005D90: D101002F 0001E52F
	v_rcp_f32_e32 v44, v44                                     // 000000005D98: 7E58452C
	v_rcp_f32_e32 v45, v45                                     // 000000005D9C: 7E5A452D
	v_rcp_f32_e32 v46, v46                                     // 000000005DA0: 7E5C452E
	v_rcp_f32_e32 v47, v47                                     // 000000005DA4: 7E5E452F
	v_mul_f32_e32 v140, v140, v44                              // 000000005DA8: 0B18598C
	v_mul_f32_e32 v141, v141, v45                              // 000000005DAC: 0B1A5B8D
	v_mul_f32_e32 v142, v142, v46                              // 000000005DB0: 0B1C5D8E
	v_mul_f32_e32 v143, v143, v47                              // 000000005DB4: 0B1E5F8F
	v_mul_f32_e32 v140, v140, v76                              // 000000005DB8: 0B18998C
	v_mul_f32_e32 v141, v141, v77                              // 000000005DBC: 0B1A9B8D
	v_mul_f32_e32 v142, v142, v78                              // 000000005DC0: 0B1C9D8E
	v_mul_f32_e32 v143, v143, v79                              // 000000005DC4: 0B1E9F8F
	v_lshlrev_b32_e32 v44, 2, v0                               // 000000005DC8: 24580082
	s_mul_i32 s60, s82, s71                                    // 000000005DCC: 923C4752
	v_add_u32_e64 v80, v44, s60                                // 000000005DD0: D1340050 0000792C
	v_mov_b32_e32 v81, 0                                       // 000000005DD8: 7EA20280
	s_mul_i32 s60, s83, s71                                    // 000000005DDC: 923C4753
	v_add_u32_e64 v82, v44, s60                                // 000000005DE0: D1340052 0000792C
	v_mov_b32_e32 v83, 0                                       // 000000005DE8: 7EA60280
	s_mul_i32 s60, s84, s71                                    // 000000005DEC: 923C4754
	v_add_u32_e64 v84, v44, s60                                // 000000005DF0: D1340054 0000792C
	v_mov_b32_e32 v85, 0                                       // 000000005DF8: 7EAA0280
	s_mul_i32 s60, s85, s71                                    // 000000005DFC: 923C4755
	v_add_u32_e64 v86, v44, s60                                // 000000005E00: D1340056 0000792C
	v_mov_b32_e32 v87, 0                                       // 000000005E08: 7EAE0280
	s_mul_i32 s60, s86, s71                                    // 000000005E0C: 923C4756
	v_add_u32_e64 v88, v44, s60                                // 000000005E10: D1340058 0000792C
	v_mov_b32_e32 v89, 0                                       // 000000005E18: 7EB20280
	s_mul_i32 s60, s87, s71                                    // 000000005E1C: 923C4757
	v_add_u32_e64 v90, v44, s60                                // 000000005E20: D134005A 0000792C
	v_mov_b32_e32 v91, 0                                       // 000000005E28: 7EB60280
	s_mul_i32 s60, s88, s71                                    // 000000005E2C: 923C4758
	v_add_u32_e64 v92, v44, s60                                // 000000005E30: D134005C 0000792C
	v_mov_b32_e32 v93, 0                                       // 000000005E38: 7EBA0280
	s_mul_i32 s60, s89, s71                                    // 000000005E3C: 923C4759
	v_add_u32_e64 v94, v44, s60                                // 000000005E40: D134005E 0000792C
	v_mov_b32_e32 v95, 0                                       // 000000005E48: 7EBE0280
	buffer_load_dword v11, v5, s[16:19], 0 offen               // 000000005E4C: E0501000 80040B05
	v_mov_b32_e32 v20, 0x358637bd                              // 000000005E54: 7E2802FF 358637BD
	v_mov_b32_e32 v21, 0x358637bd                              // 000000005E5C: 7E2A02FF 358637BD
	v_max3_f32 v20, |v128|, |v129|, v20                        // 000000005E64: D1D30314 04530380
	v_max3_f32 v20, |v130|, |v131|, v20                        // 000000005E6C: D1D30314 04530782
	v_max3_f32 v21, |v132|, |v133|, v21                        // 000000005E74: D1D30315 04570B84
	v_max3_f32 v21, |v134|, |v135|, v21                        // 000000005E7C: D1D30315 04570F86
	v_max3_f32 v20, |v136|, |v137|, v20                        // 000000005E84: D1D30314 04531388
	v_max3_f32 v20, |v138|, |v139|, v20                        // 000000005E8C: D1D30314 0453178A
	v_max3_f32 v21, |v140|, |v141|, v21                        // 000000005E94: D1D30315 04571B8C
	v_max3_f32 v21, |v142|, |v143|, v21                        // 000000005E9C: D1D30315 04571F8E
	v_lshlrev_b32_e32 v44, 3, v0                               // 000000005EA4: 24580083
	s_mul_i32 s60, 0x200, s7                                   // 000000005EA8: 923C07FF 00000200
	v_add_u32_e32 v44, s60, v44                                // 000000005EB0: 6858583C
	ds_write_b64 v44, v[20:21] offset:16640                    // 000000005EB4: D89A4100 0000142C
	s_waitcnt lgkmcnt(0)                                       // 000000005EBC: BF8CC07F
	s_barrier                                                  // 000000005EC0: BF8A0000
	v_and_b32_e32 v44, 15, v0                                  // 000000005EC4: 2658008F
	v_lshlrev_b32_e32 v44, 3, v44                              // 000000005EC8: 24585883
	ds_read_b64 v[96:97], v44 offset:16640                     // 000000005ECC: D8EC4100 6000002C
	ds_read_b64 v[98:99], v44 offset:16768                     // 000000005ED4: D8EC4180 6200002C
	ds_read_b64 v[100:101], v44 offset:16896                   // 000000005EDC: D8EC4200 6400002C
	ds_read_b64 v[102:103], v44 offset:17024                   // 000000005EE4: D8EC4280 6600002C
	ds_read_b64 v[104:105], v44 offset:17152                   // 000000005EEC: D8EC4300 6800002C
	ds_read_b64 v[106:107], v44 offset:17280                   // 000000005EF4: D8EC4380 6A00002C
	ds_read_b64 v[108:109], v44 offset:17408                   // 000000005EFC: D8EC4400 6C00002C
	ds_read_b64 v[110:111], v44 offset:17536                   // 000000005F04: D8EC4480 6E00002C
	ds_read_b64 v[112:113], v44 offset:17664                   // 000000005F0C: D8EC4500 7000002C
	ds_read_b64 v[114:115], v44 offset:17792                   // 000000005F14: D8EC4580 7200002C
	ds_read_b64 v[116:117], v44 offset:17920                   // 000000005F1C: D8EC4600 7400002C
	ds_read_b64 v[118:119], v44 offset:18048                   // 000000005F24: D8EC4680 7600002C
	ds_read_b64 v[120:121], v44 offset:18176                   // 000000005F2C: D8EC4700 7800002C
	ds_read_b64 v[122:123], v44 offset:18304                   // 000000005F34: D8EC4780 7A00002C
	ds_read_b64 v[124:125], v44 offset:18432                   // 000000005F3C: D8EC4800 7C00002C
	ds_read_b64 v[126:127], v44 offset:18560                   // 000000005F44: D8EC4880 7E00002C
	s_waitcnt lgkmcnt(0)                                       // 000000005F4C: BF8CC07F
	v_max3_f32 v20, |v96|, |v98|, v20                          // 000000005F50: D1D30314 0452C560
	v_max3_f32 v21, |v97|, |v99|, v21                          // 000000005F58: D1D30315 0456C761
	v_max3_f32 v20, |v100|, |v102|, v20                        // 000000005F60: D1D30314 0452CD64
	v_max3_f32 v21, |v101|, |v103|, v21                        // 000000005F68: D1D30315 0456CF65
	v_max3_f32 v20, |v104|, |v106|, v20                        // 000000005F70: D1D30314 0452D568
	v_max3_f32 v21, |v105|, |v107|, v21                        // 000000005F78: D1D30315 0456D769
	v_max3_f32 v20, |v108|, |v110|, v20                        // 000000005F80: D1D30314 0452DD6C
	v_max3_f32 v21, |v109|, |v111|, v21                        // 000000005F88: D1D30315 0456DF6D
	v_max3_f32 v20, |v112|, |v114|, v20                        // 000000005F90: D1D30314 0452E570
	v_max3_f32 v21, |v113|, |v115|, v21                        // 000000005F98: D1D30315 0456E771
	v_max3_f32 v20, |v116|, |v118|, v20                        // 000000005FA0: D1D30314 0452ED74
	v_max3_f32 v21, |v117|, |v119|, v21                        // 000000005FA8: D1D30315 0456EF75
	v_max3_f32 v20, |v120|, |v122|, v20                        // 000000005FB0: D1D30314 0452F578
	v_max3_f32 v21, |v121|, |v123|, v21                        // 000000005FB8: D1D30315 0456F779
	v_max3_f32 v20, |v124|, |v126|, v20                        // 000000005FC0: D1D30314 0452FD7C
	v_max3_f32 v21, |v125|, |v127|, v21                        // 000000005FC8: D1D30315 0456FF7D
	v_rcp_f32_e32 v20, v20                                     // 000000005FD0: 7E284514
	v_rcp_f32_e32 v21, v21                                     // 000000005FD4: 7E2A4515
	v_mov_b32_e32 v44, 0x43700000                              // 000000005FD8: 7E5802FF 43700000
	v_mul_f32_e32 v20, v44, v20                                // 000000005FE0: 0A28292C
	v_mul_f32_e32 v21, v44, v21                                // 000000005FE4: 0A2A2B2C
	v_mul_f32_e32 v128, v20, v128                              // 000000005FE8: 0B010114
	v_mul_f32_e32 v129, v20, v129                              // 000000005FEC: 0B030314
	v_mul_f32_e32 v130, v20, v130                              // 000000005FF0: 0B050514
	v_mul_f32_e32 v131, v20, v131                              // 000000005FF4: 0B070714
	v_cvt_pk_fp8_f32 v128, v128, v129                          // 000000005FF8: D2A20080 00030380
	v_cvt_pk_fp8_f32 v128, v130, v131 op_sel:[0,0,1]           // 000000006000: D2A24080 00030782
	v_mul_f32_e32 v132, v21, v132                              // 000000006008: 0B090915
	v_mul_f32_e32 v133, v21, v133                              // 00000000600C: 0B0B0B15
	v_mul_f32_e32 v134, v21, v134                              // 000000006010: 0B0D0D15
	v_mul_f32_e32 v135, v21, v135                              // 000000006014: 0B0F0F15
	v_cvt_pk_fp8_f32 v129, v132, v133                          // 000000006018: D2A20081 00030B84
	v_cvt_pk_fp8_f32 v129, v134, v135 op_sel:[0,0,1]           // 000000006020: D2A24081 00030F86
	v_mul_f32_e32 v136, v20, v136                              // 000000006028: 0B111114
	v_mul_f32_e32 v137, v20, v137                              // 00000000602C: 0B131314
	v_mul_f32_e32 v138, v20, v138                              // 000000006030: 0B151514
	v_mul_f32_e32 v139, v20, v139                              // 000000006034: 0B171714
	v_cvt_pk_fp8_f32 v130, v136, v137                          // 000000006038: D2A20082 00031388
	v_cvt_pk_fp8_f32 v130, v138, v139 op_sel:[0,0,1]           // 000000006040: D2A24082 0003178A
	v_mul_f32_e32 v140, v21, v140                              // 000000006048: 0B191915
	v_mul_f32_e32 v141, v21, v141                              // 00000000604C: 0B1B1B15
	v_mul_f32_e32 v142, v21, v142                              // 000000006050: 0B1D1D15
	v_mul_f32_e32 v143, v21, v143                              // 000000006054: 0B1F1F15
	v_cvt_pk_fp8_f32 v131, v140, v141                          // 000000006058: D2A20083 00031B8C
	v_cvt_pk_fp8_f32 v131, v142, v143 op_sel:[0,0,1]           // 000000006060: D2A24083 00031F8E
	v_rcp_f32_e32 v22, v20                                     // 000000006068: 7E2C4514
	v_rcp_f32_e32 v23, v21                                     // 00000000606C: 7E2E4515
	v_lshrrev_b32_e32 v44, 5, v0                               // 000000006070: 20580085
	v_lshlrev_b32_e32 v45, 5, v44                              // 000000006074: 245A5885
	v_and_b32_e32 v44, 31, v0                                  // 000000006078: 2658009F
	v_lshrrev_b32_e32 v46, 4, v44                              // 00000000607C: 205C5884
	v_add_u32_e32 v45, v46, v45                                // 000000006080: 685A5B2E
	v_and_b32_e32 v44, 15, v0                                  // 000000006084: 2658008F
	v_lshlrev_b32_e32 v44, 1, v44                              // 000000006088: 24585881
	v_add_u32_e32 v45, v44, v45                                // 00000000608C: 685A5B2C
	v_lshlrev_b32_e32 v44, 2, v45                              // 000000006090: 24585A82
	s_mul_i32 s60, 0x100, s7                                   // 000000006094: 923C07FF 00000100
	v_add_u32_e64 v44, v44, s60                                // 00000000609C: D134002C 0000792C
	ds_write_b32 v44, v128 offset:18688                        // 0000000060A4: D81A4900 0000802C
	ds_write_b32 v44, v129 offset:20736                        // 0000000060AC: D81A5100 0000812C
	ds_write_b32 v44, v130 offset:19712                        // 0000000060B4: D81A4D00 0000822C
	ds_write_b32 v44, v131 offset:21760                        // 0000000060BC: D81A5500 0000832C
	s_waitcnt lgkmcnt(0)                                       // 0000000060C4: BF8CC07F
	s_barrier                                                  // 0000000060C8: BF8A0000
	v_lshrrev_b32_e32 v44, 4, v0                               // 0000000060CC: 20580084
	v_lshlrev_b32_e32 v45, 7, v44                              // 0000000060D0: 245A5887
	v_and_b32_e32 v44, 15, v0                                  // 0000000060D4: 2658008F
	v_lshlrev_b32_e32 v44, 1, v44                              // 0000000060D8: 24585881
	v_add_u32_e32 v45, v44, v45                                // 0000000060DC: 685A5B2C
	v_lshlrev_b32_e32 v44, 2, v45                              // 0000000060E0: 24585A82
	ds_read_b64 v[128:129], v44 offset:18688                   // 0000000060E4: D8EC4900 8000002C
	ds_read_b64 v[130:131], v44 offset:18816                   // 0000000060EC: D8EC4980 8200002C
	ds_read_b64 v[132:133], v44 offset:18944                   // 0000000060F4: D8EC4A00 8400002C
	ds_read_b64 v[134:135], v44 offset:19072                   // 0000000060FC: D8EC4A80 8600002C
	ds_read_b64 v[136:137], v44 offset:20736                   // 000000006104: D8EC5100 8800002C
	ds_read_b64 v[138:139], v44 offset:20864                   // 00000000610C: D8EC5180 8A00002C
	ds_read_b64 v[140:141], v44 offset:20992                   // 000000006114: D8EC5200 8C00002C
	ds_read_b64 v[142:143], v44 offset:21120                   // 00000000611C: D8EC5280 8E00002C
	s_add_u32 s12, s56, s12                                    // 000000006124: 800C0C38
	s_addc_u32 s13, 0, s13                                     // 000000006128: 820D0D80
	s_add_u32 s16, s79, s16                                    // 00000000612C: 8010104F
	s_addc_u32 s17, 0, s17                                     // 000000006130: 82111180
	s_mov_b32 s80, 0                                           // 000000006134: BED00080
	s_waitcnt vmcnt(0) expcnt(0) lgkmcnt(0)                    // 000000006138: BF8C0000

000000000000613c <label_0D8F>:
	s_waitcnt vmcnt(17)                                        // 00000000613C: BF8C4F71
	s_barrier                                                  // 000000006140: BF8A0000
	s_waitcnt vmcnt(16)                                        // 000000006144: BF8C4F70
	v_accvgpr_read_b32 v44, a16                                // 000000006148: D3D8402C 18000110
	v_cvt_off_f32_i4_e32 v45, v44                              // 000000006150: 7E5A1D2C
	v_cvt_off_f32_i4_sdwa v46, v44 dst_sel:DWORD dst_unused:UNUSED_PRESERVE src0_sel:BYTE_2// 000000006154: 7E5C1CF9 0002162C
	v_cvt_pk_fp8_f32 v48, v45, v46                             // 00000000615C: D2A20030 00025D2D
	v_cvt_off_f32_i4_sdwa v45, v44 dst_sel:DWORD dst_unused:UNUSED_PRESERVE src0_sel:BYTE_1// 000000006164: 7E5A1CF9 0001162C
	v_cvt_off_f32_i4_sdwa v46, v44 dst_sel:DWORD dst_unused:UNUSED_PRESERVE src0_sel:BYTE_3// 00000000616C: 7E5C1CF9 0003162C
	v_cvt_pk_fp8_f32 v49, v45, v46                             // 000000006174: D2A20031 00025D2D
	v_lshrrev_b32_e32 v47, 4, v44                              // 00000000617C: 205E5884
	v_cvt_off_f32_i4_e32 v45, v47                              // 000000006180: 7E5A1D2F
	v_cvt_off_f32_i4_sdwa v46, v47 dst_sel:DWORD dst_unused:UNUSED_PRESERVE src0_sel:BYTE_2// 000000006184: 7E5C1CF9 0002162F
	v_cvt_pk_fp8_f32 v48, v45, v46 op_sel:[0,0,1]              // 00000000618C: D2A24030 00025D2D
	v_cvt_off_f32_i4_sdwa v45, v47 dst_sel:DWORD dst_unused:UNUSED_PRESERVE src0_sel:BYTE_1// 000000006194: 7E5A1CF9 0001162F
	v_cvt_off_f32_i4_sdwa v46, v47 dst_sel:DWORD dst_unused:UNUSED_PRESERVE src0_sel:BYTE_3// 00000000619C: 7E5C1CF9 0003162F
	v_cvt_pk_fp8_f32 v49, v45, v46 op_sel:[0,0,1]              // 0000000061A4: D2A24031 00025D2D
	v_accvgpr_write_b32 a0, v48                                // 0000000061AC: D3D94000 18000130
	v_accvgpr_write_b32 a1, v49                                // 0000000061B4: D3D94001 18000131
	s_nop 3                                                    // 0000000061BC: BF800003
	v_mfma_f32_16x16x32_fp8_fp8 v[144:147], a[0:1], v[128:129], 0// 0000000061C0: D3F30090 0A030100
	v_accvgpr_read_b32 v44, a17                                // 0000000061C8: D3D8402C 18000111
	v_cvt_off_f32_i4_e32 v45, v44                              // 0000000061D0: 7E5A1D2C
	v_cvt_off_f32_i4_sdwa v46, v44 dst_sel:DWORD dst_unused:UNUSED_PRESERVE src0_sel:BYTE_2// 0000000061D4: 7E5C1CF9 0002162C
	v_cvt_pk_fp8_f32 v48, v45, v46                             // 0000000061DC: D2A20030 00025D2D
	v_cvt_off_f32_i4_sdwa v45, v44 dst_sel:DWORD dst_unused:UNUSED_PRESERVE src0_sel:BYTE_1// 0000000061E4: 7E5A1CF9 0001162C
	v_cvt_off_f32_i4_sdwa v46, v44 dst_sel:DWORD dst_unused:UNUSED_PRESERVE src0_sel:BYTE_3// 0000000061EC: 7E5C1CF9 0003162C
	v_cvt_pk_fp8_f32 v49, v45, v46                             // 0000000061F4: D2A20031 00025D2D
	v_lshrrev_b32_e32 v47, 4, v44                              // 0000000061FC: 205E5884
	v_cvt_off_f32_i4_e32 v45, v47                              // 000000006200: 7E5A1D2F
	v_cvt_off_f32_i4_sdwa v46, v47 dst_sel:DWORD dst_unused:UNUSED_PRESERVE src0_sel:BYTE_2// 000000006204: 7E5C1CF9 0002162F
	v_cvt_pk_fp8_f32 v48, v45, v46 op_sel:[0,0,1]              // 00000000620C: D2A24030 00025D2D
	v_cvt_off_f32_i4_sdwa v45, v47 dst_sel:DWORD dst_unused:UNUSED_PRESERVE src0_sel:BYTE_1// 000000006214: 7E5A1CF9 0001162F
	v_cvt_off_f32_i4_sdwa v46, v47 dst_sel:DWORD dst_unused:UNUSED_PRESERVE src0_sel:BYTE_3// 00000000621C: 7E5C1CF9 0003162F
	v_cvt_pk_fp8_f32 v49, v45, v46 op_sel:[0,0,1]              // 000000006224: D2A24031 00025D2D
	v_accvgpr_write_b32 a2, v48                                // 00000000622C: D3D94002 18000130
	v_accvgpr_write_b32 a3, v49                                // 000000006234: D3D94003 18000131
	s_nop 3                                                    // 00000000623C: BF800003
	v_mfma_f32_16x16x32_fp8_fp8 v[144:147], a[2:3], v[130:131], v[144:147]// 000000006240: D3F30090 0E430502
	buffer_load_dwordx4 a[48:51], v34, s[12:15], 0 offen       // 000000006248: E05C1000 80833022
	v_accvgpr_read_b32 v44, a18                                // 000000006250: D3D8402C 18000112
	v_cvt_off_f32_i4_e32 v45, v44                              // 000000006258: 7E5A1D2C
	v_cvt_off_f32_i4_sdwa v46, v44 dst_sel:DWORD dst_unused:UNUSED_PRESERVE src0_sel:BYTE_2// 00000000625C: 7E5C1CF9 0002162C
	v_cvt_pk_fp8_f32 v48, v45, v46                             // 000000006264: D2A20030 00025D2D
	v_cvt_off_f32_i4_sdwa v45, v44 dst_sel:DWORD dst_unused:UNUSED_PRESERVE src0_sel:BYTE_1// 00000000626C: 7E5A1CF9 0001162C
	v_cvt_off_f32_i4_sdwa v46, v44 dst_sel:DWORD dst_unused:UNUSED_PRESERVE src0_sel:BYTE_3// 000000006274: 7E5C1CF9 0003162C
	v_cvt_pk_fp8_f32 v49, v45, v46                             // 00000000627C: D2A20031 00025D2D
	v_lshrrev_b32_e32 v47, 4, v44                              // 000000006284: 205E5884
	v_cvt_off_f32_i4_e32 v45, v47                              // 000000006288: 7E5A1D2F
	v_cvt_off_f32_i4_sdwa v46, v47 dst_sel:DWORD dst_unused:UNUSED_PRESERVE src0_sel:BYTE_2// 00000000628C: 7E5C1CF9 0002162F
	v_cvt_pk_fp8_f32 v48, v45, v46 op_sel:[0,0,1]              // 000000006294: D2A24030 00025D2D
	v_cvt_off_f32_i4_sdwa v45, v47 dst_sel:DWORD dst_unused:UNUSED_PRESERVE src0_sel:BYTE_1// 00000000629C: 7E5A1CF9 0001162F
	v_cvt_off_f32_i4_sdwa v46, v47 dst_sel:DWORD dst_unused:UNUSED_PRESERVE src0_sel:BYTE_3// 0000000062A4: 7E5C1CF9 0003162F
	v_cvt_pk_fp8_f32 v49, v45, v46 op_sel:[0,0,1]              // 0000000062AC: D2A24031 00025D2D
	v_accvgpr_write_b32 a4, v48                                // 0000000062B4: D3D94004 18000130
	v_accvgpr_write_b32 a5, v49                                // 0000000062BC: D3D94005 18000131
	s_nop 3                                                    // 0000000062C4: BF800003
	v_mfma_f32_16x16x32_fp8_fp8 v[144:147], a[4:5], v[132:133], v[144:147]// 0000000062C8: D3F30090 0E430904
	v_accvgpr_read_b32 v44, a19                                // 0000000062D0: D3D8402C 18000113
	v_cvt_off_f32_i4_e32 v45, v44                              // 0000000062D8: 7E5A1D2C
	v_cvt_off_f32_i4_sdwa v46, v44 dst_sel:DWORD dst_unused:UNUSED_PRESERVE src0_sel:BYTE_2// 0000000062DC: 7E5C1CF9 0002162C
	v_cvt_pk_fp8_f32 v48, v45, v46                             // 0000000062E4: D2A20030 00025D2D
	v_cvt_off_f32_i4_sdwa v45, v44 dst_sel:DWORD dst_unused:UNUSED_PRESERVE src0_sel:BYTE_1// 0000000062EC: 7E5A1CF9 0001162C
	v_cvt_off_f32_i4_sdwa v46, v44 dst_sel:DWORD dst_unused:UNUSED_PRESERVE src0_sel:BYTE_3// 0000000062F4: 7E5C1CF9 0003162C
	v_cvt_pk_fp8_f32 v49, v45, v46                             // 0000000062FC: D2A20031 00025D2D
	v_lshrrev_b32_e32 v47, 4, v44                              // 000000006304: 205E5884
	v_cvt_off_f32_i4_e32 v45, v47                              // 000000006308: 7E5A1D2F
	v_cvt_off_f32_i4_sdwa v46, v47 dst_sel:DWORD dst_unused:UNUSED_PRESERVE src0_sel:BYTE_2// 00000000630C: 7E5C1CF9 0002162F
	v_cvt_pk_fp8_f32 v48, v45, v46 op_sel:[0,0,1]              // 000000006314: D2A24030 00025D2D
	v_cvt_off_f32_i4_sdwa v45, v47 dst_sel:DWORD dst_unused:UNUSED_PRESERVE src0_sel:BYTE_1// 00000000631C: 7E5A1CF9 0001162F
	v_cvt_off_f32_i4_sdwa v46, v47 dst_sel:DWORD dst_unused:UNUSED_PRESERVE src0_sel:BYTE_3// 000000006324: 7E5C1CF9 0003162F
	v_cvt_pk_fp8_f32 v49, v45, v46 op_sel:[0,0,1]              // 00000000632C: D2A24031 00025D2D
	v_accvgpr_write_b32 a6, v48                                // 000000006334: D3D94006 18000130
	v_accvgpr_write_b32 a7, v49                                // 00000000633C: D3D94007 18000131
	s_nop 3                                                    // 000000006344: BF800003
	v_mfma_f32_16x16x32_fp8_fp8 v[144:147], a[6:7], v[134:135], v[144:147]// 000000006348: D3F30090 0E430D06
	buffer_load_dword v12, v5, s[16:19], 0 offen               // 000000006350: E0501000 80040C05
	v_mfma_f32_16x16x32_fp8_fp8 v[148:151], a[0:1], v[136:137], 0// 000000006358: D3F30094 0A031100
	v_mfma_f32_16x16x32_fp8_fp8 v[148:151], a[2:3], v[138:139], v[148:151]// 000000006360: D3F30094 0E531502
	v_mfma_f32_16x16x32_fp8_fp8 v[148:151], a[4:5], v[140:141], v[148:151]// 000000006368: D3F30094 0E531904
	v_mfma_f32_16x16x32_fp8_fp8 v[148:151], a[6:7], v[142:143], v[148:151]// 000000006370: D3F30094 0E531D06
	v_accvgpr_read_b32 v44, a20                                // 000000006378: D3D8402C 18000114
	v_cvt_off_f32_i4_e32 v45, v44                              // 000000006380: 7E5A1D2C
	v_cvt_off_f32_i4_sdwa v46, v44 dst_sel:DWORD dst_unused:UNUSED_PRESERVE src0_sel:BYTE_2// 000000006384: 7E5C1CF9 0002162C
	v_cvt_pk_fp8_f32 v48, v45, v46                             // 00000000638C: D2A20030 00025D2D
	v_cvt_off_f32_i4_sdwa v45, v44 dst_sel:DWORD dst_unused:UNUSED_PRESERVE src0_sel:BYTE_1// 000000006394: 7E5A1CF9 0001162C
	v_cvt_off_f32_i4_sdwa v46, v44 dst_sel:DWORD dst_unused:UNUSED_PRESERVE src0_sel:BYTE_3// 00000000639C: 7E5C1CF9 0003162C
	v_cvt_pk_fp8_f32 v49, v45, v46                             // 0000000063A4: D2A20031 00025D2D
	v_lshrrev_b32_e32 v47, 4, v44                              // 0000000063AC: 205E5884
	v_cvt_off_f32_i4_e32 v45, v47                              // 0000000063B0: 7E5A1D2F
	v_cvt_off_f32_i4_sdwa v46, v47 dst_sel:DWORD dst_unused:UNUSED_PRESERVE src0_sel:BYTE_2// 0000000063B4: 7E5C1CF9 0002162F
	v_cvt_pk_fp8_f32 v48, v45, v46 op_sel:[0,0,1]              // 0000000063BC: D2A24030 00025D2D
	v_cvt_off_f32_i4_sdwa v45, v47 dst_sel:DWORD dst_unused:UNUSED_PRESERVE src0_sel:BYTE_1// 0000000063C4: 7E5A1CF9 0001162F
	v_cvt_off_f32_i4_sdwa v46, v47 dst_sel:DWORD dst_unused:UNUSED_PRESERVE src0_sel:BYTE_3// 0000000063CC: 7E5C1CF9 0003162F
	v_cvt_pk_fp8_f32 v49, v45, v46 op_sel:[0,0,1]              // 0000000063D4: D2A24031 00025D2D
	v_accvgpr_write_b32 a8, v48                                // 0000000063DC: D3D94008 18000130
	v_accvgpr_write_b32 a9, v49                                // 0000000063E4: D3D94009 18000131
	s_nop 3                                                    // 0000000063EC: BF800003
	v_mfma_f32_16x16x32_fp8_fp8 v[152:155], a[8:9], v[128:129], 0// 0000000063F0: D3F30098 0A030108
	v_accvgpr_read_b32 v44, a21                                // 0000000063F8: D3D8402C 18000115
	v_cvt_off_f32_i4_e32 v45, v44                              // 000000006400: 7E5A1D2C
	v_cvt_off_f32_i4_sdwa v46, v44 dst_sel:DWORD dst_unused:UNUSED_PRESERVE src0_sel:BYTE_2// 000000006404: 7E5C1CF9 0002162C
	v_cvt_pk_fp8_f32 v48, v45, v46                             // 00000000640C: D2A20030 00025D2D
	v_cvt_off_f32_i4_sdwa v45, v44 dst_sel:DWORD dst_unused:UNUSED_PRESERVE src0_sel:BYTE_1// 000000006414: 7E5A1CF9 0001162C
	v_cvt_off_f32_i4_sdwa v46, v44 dst_sel:DWORD dst_unused:UNUSED_PRESERVE src0_sel:BYTE_3// 00000000641C: 7E5C1CF9 0003162C
	v_cvt_pk_fp8_f32 v49, v45, v46                             // 000000006424: D2A20031 00025D2D
	v_lshrrev_b32_e32 v47, 4, v44                              // 00000000642C: 205E5884
	v_cvt_off_f32_i4_e32 v45, v47                              // 000000006430: 7E5A1D2F
	v_cvt_off_f32_i4_sdwa v46, v47 dst_sel:DWORD dst_unused:UNUSED_PRESERVE src0_sel:BYTE_2// 000000006434: 7E5C1CF9 0002162F
	v_cvt_pk_fp8_f32 v48, v45, v46 op_sel:[0,0,1]              // 00000000643C: D2A24030 00025D2D
	v_cvt_off_f32_i4_sdwa v45, v47 dst_sel:DWORD dst_unused:UNUSED_PRESERVE src0_sel:BYTE_1// 000000006444: 7E5A1CF9 0001162F
	v_cvt_off_f32_i4_sdwa v46, v47 dst_sel:DWORD dst_unused:UNUSED_PRESERVE src0_sel:BYTE_3// 00000000644C: 7E5C1CF9 0003162F
	v_cvt_pk_fp8_f32 v49, v45, v46 op_sel:[0,0,1]              // 000000006454: D2A24031 00025D2D
	v_accvgpr_write_b32 a10, v48                               // 00000000645C: D3D9400A 18000130
	v_accvgpr_write_b32 a11, v49                               // 000000006464: D3D9400B 18000131
	s_nop 3                                                    // 00000000646C: BF800003
	v_mfma_f32_16x16x32_fp8_fp8 v[152:155], a[10:11], v[130:131], v[152:155]// 000000006470: D3F30098 0E63050A
	buffer_load_dwordx4 a[52:55], v35, s[12:15], 0 offen       // 000000006478: E05C1000 80833423
	v_accvgpr_read_b32 v44, a22                                // 000000006480: D3D8402C 18000116
	v_cvt_off_f32_i4_e32 v45, v44                              // 000000006488: 7E5A1D2C
	v_cvt_off_f32_i4_sdwa v46, v44 dst_sel:DWORD dst_unused:UNUSED_PRESERVE src0_sel:BYTE_2// 00000000648C: 7E5C1CF9 0002162C
	v_cvt_pk_fp8_f32 v48, v45, v46                             // 000000006494: D2A20030 00025D2D
	v_cvt_off_f32_i4_sdwa v45, v44 dst_sel:DWORD dst_unused:UNUSED_PRESERVE src0_sel:BYTE_1// 00000000649C: 7E5A1CF9 0001162C
	v_cvt_off_f32_i4_sdwa v46, v44 dst_sel:DWORD dst_unused:UNUSED_PRESERVE src0_sel:BYTE_3// 0000000064A4: 7E5C1CF9 0003162C
	v_cvt_pk_fp8_f32 v49, v45, v46                             // 0000000064AC: D2A20031 00025D2D
	v_lshrrev_b32_e32 v47, 4, v44                              // 0000000064B4: 205E5884
	v_cvt_off_f32_i4_e32 v45, v47                              // 0000000064B8: 7E5A1D2F
	v_cvt_off_f32_i4_sdwa v46, v47 dst_sel:DWORD dst_unused:UNUSED_PRESERVE src0_sel:BYTE_2// 0000000064BC: 7E5C1CF9 0002162F
	v_cvt_pk_fp8_f32 v48, v45, v46 op_sel:[0,0,1]              // 0000000064C4: D2A24030 00025D2D
	v_cvt_off_f32_i4_sdwa v45, v47 dst_sel:DWORD dst_unused:UNUSED_PRESERVE src0_sel:BYTE_1// 0000000064CC: 7E5A1CF9 0001162F
	v_cvt_off_f32_i4_sdwa v46, v47 dst_sel:DWORD dst_unused:UNUSED_PRESERVE src0_sel:BYTE_3// 0000000064D4: 7E5C1CF9 0003162F
	v_cvt_pk_fp8_f32 v49, v45, v46 op_sel:[0,0,1]              // 0000000064DC: D2A24031 00025D2D
	v_accvgpr_write_b32 a12, v48                               // 0000000064E4: D3D9400C 18000130
	v_accvgpr_write_b32 a13, v49                               // 0000000064EC: D3D9400D 18000131
	s_nop 3                                                    // 0000000064F4: BF800003
	v_mfma_f32_16x16x32_fp8_fp8 v[152:155], a[12:13], v[132:133], v[152:155]// 0000000064F8: D3F30098 0E63090C
	v_accvgpr_read_b32 v44, a23                                // 000000006500: D3D8402C 18000117
	v_cvt_off_f32_i4_e32 v45, v44                              // 000000006508: 7E5A1D2C
	v_cvt_off_f32_i4_sdwa v46, v44 dst_sel:DWORD dst_unused:UNUSED_PRESERVE src0_sel:BYTE_2// 00000000650C: 7E5C1CF9 0002162C
	v_cvt_pk_fp8_f32 v48, v45, v46                             // 000000006514: D2A20030 00025D2D
	v_cvt_off_f32_i4_sdwa v45, v44 dst_sel:DWORD dst_unused:UNUSED_PRESERVE src0_sel:BYTE_1// 00000000651C: 7E5A1CF9 0001162C
	v_cvt_off_f32_i4_sdwa v46, v44 dst_sel:DWORD dst_unused:UNUSED_PRESERVE src0_sel:BYTE_3// 000000006524: 7E5C1CF9 0003162C
	v_cvt_pk_fp8_f32 v49, v45, v46                             // 00000000652C: D2A20031 00025D2D
	v_lshrrev_b32_e32 v47, 4, v44                              // 000000006534: 205E5884
	v_cvt_off_f32_i4_e32 v45, v47                              // 000000006538: 7E5A1D2F
	v_cvt_off_f32_i4_sdwa v46, v47 dst_sel:DWORD dst_unused:UNUSED_PRESERVE src0_sel:BYTE_2// 00000000653C: 7E5C1CF9 0002162F
	v_cvt_pk_fp8_f32 v48, v45, v46 op_sel:[0,0,1]              // 000000006544: D2A24030 00025D2D
	v_cvt_off_f32_i4_sdwa v45, v47 dst_sel:DWORD dst_unused:UNUSED_PRESERVE src0_sel:BYTE_1// 00000000654C: 7E5A1CF9 0001162F
	v_cvt_off_f32_i4_sdwa v46, v47 dst_sel:DWORD dst_unused:UNUSED_PRESERVE src0_sel:BYTE_3// 000000006554: 7E5C1CF9 0003162F
	v_cvt_pk_fp8_f32 v49, v45, v46 op_sel:[0,0,1]              // 00000000655C: D2A24031 00025D2D
	v_accvgpr_write_b32 a14, v48                               // 000000006564: D3D9400E 18000130
	v_accvgpr_write_b32 a15, v49                               // 00000000656C: D3D9400F 18000131
	s_nop 3                                                    // 000000006574: BF800003
	v_mfma_f32_16x16x32_fp8_fp8 v[152:155], a[14:15], v[134:135], v[152:155]// 000000006578: D3F30098 0E630D0E
	v_mfma_f32_16x16x32_fp8_fp8 v[156:159], a[8:9], v[136:137], 0// 000000006580: D3F3009C 0A031108
	v_mfma_f32_16x16x32_fp8_fp8 v[156:159], a[10:11], v[138:139], v[156:159]// 000000006588: D3F3009C 0E73150A
	v_mfma_f32_16x16x32_fp8_fp8 v[156:159], a[12:13], v[140:141], v[156:159]// 000000006590: D3F3009C 0E73190C
	v_mfma_f32_16x16x32_fp8_fp8 v[156:159], a[14:15], v[142:143], v[156:159]// 000000006598: D3F3009C 0E731D0E
	v_accvgpr_read_b32 v44, a24                                // 0000000065A0: D3D8402C 18000118
	v_cvt_off_f32_i4_e32 v45, v44                              // 0000000065A8: 7E5A1D2C
	v_cvt_off_f32_i4_sdwa v46, v44 dst_sel:DWORD dst_unused:UNUSED_PRESERVE src0_sel:BYTE_2// 0000000065AC: 7E5C1CF9 0002162C
	v_cvt_pk_fp8_f32 v48, v45, v46                             // 0000000065B4: D2A20030 00025D2D
	v_cvt_off_f32_i4_sdwa v45, v44 dst_sel:DWORD dst_unused:UNUSED_PRESERVE src0_sel:BYTE_1// 0000000065BC: 7E5A1CF9 0001162C
	v_cvt_off_f32_i4_sdwa v46, v44 dst_sel:DWORD dst_unused:UNUSED_PRESERVE src0_sel:BYTE_3// 0000000065C4: 7E5C1CF9 0003162C
	v_cvt_pk_fp8_f32 v49, v45, v46                             // 0000000065CC: D2A20031 00025D2D
	v_lshrrev_b32_e32 v47, 4, v44                              // 0000000065D4: 205E5884
	v_cvt_off_f32_i4_e32 v45, v47                              // 0000000065D8: 7E5A1D2F
	v_cvt_off_f32_i4_sdwa v46, v47 dst_sel:DWORD dst_unused:UNUSED_PRESERVE src0_sel:BYTE_2// 0000000065DC: 7E5C1CF9 0002162F
	v_cvt_pk_fp8_f32 v48, v45, v46 op_sel:[0,0,1]              // 0000000065E4: D2A24030 00025D2D
	v_cvt_off_f32_i4_sdwa v45, v47 dst_sel:DWORD dst_unused:UNUSED_PRESERVE src0_sel:BYTE_1// 0000000065EC: 7E5A1CF9 0001162F
	v_cvt_off_f32_i4_sdwa v46, v47 dst_sel:DWORD dst_unused:UNUSED_PRESERVE src0_sel:BYTE_3// 0000000065F4: 7E5C1CF9 0003162F
	v_cvt_pk_fp8_f32 v49, v45, v46 op_sel:[0,0,1]              // 0000000065FC: D2A24031 00025D2D
	v_accvgpr_write_b32 a16, v48                               // 000000006604: D3D94010 18000130
	v_accvgpr_write_b32 a17, v49                               // 00000000660C: D3D94011 18000131
	s_nop 3                                                    // 000000006614: BF800003
	v_mfma_f32_16x16x32_fp8_fp8 v[160:163], a[16:17], v[128:129], 0// 000000006618: D3F300A0 0A030110
	v_accvgpr_read_b32 v44, a25                                // 000000006620: D3D8402C 18000119
	v_cvt_off_f32_i4_e32 v45, v44                              // 000000006628: 7E5A1D2C
	v_cvt_off_f32_i4_sdwa v46, v44 dst_sel:DWORD dst_unused:UNUSED_PRESERVE src0_sel:BYTE_2// 00000000662C: 7E5C1CF9 0002162C
	v_cvt_pk_fp8_f32 v48, v45, v46                             // 000000006634: D2A20030 00025D2D
	v_cvt_off_f32_i4_sdwa v45, v44 dst_sel:DWORD dst_unused:UNUSED_PRESERVE src0_sel:BYTE_1// 00000000663C: 7E5A1CF9 0001162C
	v_cvt_off_f32_i4_sdwa v46, v44 dst_sel:DWORD dst_unused:UNUSED_PRESERVE src0_sel:BYTE_3// 000000006644: 7E5C1CF9 0003162C
	v_cvt_pk_fp8_f32 v49, v45, v46                             // 00000000664C: D2A20031 00025D2D
	v_lshrrev_b32_e32 v47, 4, v44                              // 000000006654: 205E5884
	v_cvt_off_f32_i4_e32 v45, v47                              // 000000006658: 7E5A1D2F
	v_cvt_off_f32_i4_sdwa v46, v47 dst_sel:DWORD dst_unused:UNUSED_PRESERVE src0_sel:BYTE_2// 00000000665C: 7E5C1CF9 0002162F
	v_cvt_pk_fp8_f32 v48, v45, v46 op_sel:[0,0,1]              // 000000006664: D2A24030 00025D2D
	v_cvt_off_f32_i4_sdwa v45, v47 dst_sel:DWORD dst_unused:UNUSED_PRESERVE src0_sel:BYTE_1// 00000000666C: 7E5A1CF9 0001162F
	v_cvt_off_f32_i4_sdwa v46, v47 dst_sel:DWORD dst_unused:UNUSED_PRESERVE src0_sel:BYTE_3// 000000006674: 7E5C1CF9 0003162F
	v_cvt_pk_fp8_f32 v49, v45, v46 op_sel:[0,0,1]              // 00000000667C: D2A24031 00025D2D
	v_accvgpr_write_b32 a18, v48                               // 000000006684: D3D94012 18000130
	v_accvgpr_write_b32 a19, v49                               // 00000000668C: D3D94013 18000131
	s_nop 3                                                    // 000000006694: BF800003
	v_mfma_f32_16x16x32_fp8_fp8 v[160:163], a[18:19], v[130:131], v[160:163]// 000000006698: D3F300A0 0E830512
	buffer_load_dwordx4 a[56:59], v36, s[12:15], 0 offen       // 0000000066A0: E05C1000 80833824
	v_accvgpr_read_b32 v44, a26                                // 0000000066A8: D3D8402C 1800011A
	v_cvt_off_f32_i4_e32 v45, v44                              // 0000000066B0: 7E5A1D2C
	v_cvt_off_f32_i4_sdwa v46, v44 dst_sel:DWORD dst_unused:UNUSED_PRESERVE src0_sel:BYTE_2// 0000000066B4: 7E5C1CF9 0002162C
	v_cvt_pk_fp8_f32 v48, v45, v46                             // 0000000066BC: D2A20030 00025D2D
	v_cvt_off_f32_i4_sdwa v45, v44 dst_sel:DWORD dst_unused:UNUSED_PRESERVE src0_sel:BYTE_1// 0000000066C4: 7E5A1CF9 0001162C
	v_cvt_off_f32_i4_sdwa v46, v44 dst_sel:DWORD dst_unused:UNUSED_PRESERVE src0_sel:BYTE_3// 0000000066CC: 7E5C1CF9 0003162C
	v_cvt_pk_fp8_f32 v49, v45, v46                             // 0000000066D4: D2A20031 00025D2D
	v_lshrrev_b32_e32 v47, 4, v44                              // 0000000066DC: 205E5884
	v_cvt_off_f32_i4_e32 v45, v47                              // 0000000066E0: 7E5A1D2F
	v_cvt_off_f32_i4_sdwa v46, v47 dst_sel:DWORD dst_unused:UNUSED_PRESERVE src0_sel:BYTE_2// 0000000066E4: 7E5C1CF9 0002162F
	v_cvt_pk_fp8_f32 v48, v45, v46 op_sel:[0,0,1]              // 0000000066EC: D2A24030 00025D2D
	v_cvt_off_f32_i4_sdwa v45, v47 dst_sel:DWORD dst_unused:UNUSED_PRESERVE src0_sel:BYTE_1// 0000000066F4: 7E5A1CF9 0001162F
	v_cvt_off_f32_i4_sdwa v46, v47 dst_sel:DWORD dst_unused:UNUSED_PRESERVE src0_sel:BYTE_3// 0000000066FC: 7E5C1CF9 0003162F
	v_cvt_pk_fp8_f32 v49, v45, v46 op_sel:[0,0,1]              // 000000006704: D2A24031 00025D2D
	v_accvgpr_write_b32 a20, v48                               // 00000000670C: D3D94014 18000130
	v_accvgpr_write_b32 a21, v49                               // 000000006714: D3D94015 18000131
	s_nop 3                                                    // 00000000671C: BF800003
	v_mfma_f32_16x16x32_fp8_fp8 v[160:163], a[20:21], v[132:133], v[160:163]// 000000006720: D3F300A0 0E830914
	v_accvgpr_read_b32 v44, a27                                // 000000006728: D3D8402C 1800011B
	v_cvt_off_f32_i4_e32 v45, v44                              // 000000006730: 7E5A1D2C
	v_cvt_off_f32_i4_sdwa v46, v44 dst_sel:DWORD dst_unused:UNUSED_PRESERVE src0_sel:BYTE_2// 000000006734: 7E5C1CF9 0002162C
	v_cvt_pk_fp8_f32 v48, v45, v46                             // 00000000673C: D2A20030 00025D2D
	v_cvt_off_f32_i4_sdwa v45, v44 dst_sel:DWORD dst_unused:UNUSED_PRESERVE src0_sel:BYTE_1// 000000006744: 7E5A1CF9 0001162C
	v_cvt_off_f32_i4_sdwa v46, v44 dst_sel:DWORD dst_unused:UNUSED_PRESERVE src0_sel:BYTE_3// 00000000674C: 7E5C1CF9 0003162C
	v_cvt_pk_fp8_f32 v49, v45, v46                             // 000000006754: D2A20031 00025D2D
	v_lshrrev_b32_e32 v47, 4, v44                              // 00000000675C: 205E5884
	v_cvt_off_f32_i4_e32 v45, v47                              // 000000006760: 7E5A1D2F
	v_cvt_off_f32_i4_sdwa v46, v47 dst_sel:DWORD dst_unused:UNUSED_PRESERVE src0_sel:BYTE_2// 000000006764: 7E5C1CF9 0002162F
	v_cvt_pk_fp8_f32 v48, v45, v46 op_sel:[0,0,1]              // 00000000676C: D2A24030 00025D2D
	v_cvt_off_f32_i4_sdwa v45, v47 dst_sel:DWORD dst_unused:UNUSED_PRESERVE src0_sel:BYTE_1// 000000006774: 7E5A1CF9 0001162F
	v_cvt_off_f32_i4_sdwa v46, v47 dst_sel:DWORD dst_unused:UNUSED_PRESERVE src0_sel:BYTE_3// 00000000677C: 7E5C1CF9 0003162F
	v_cvt_pk_fp8_f32 v49, v45, v46 op_sel:[0,0,1]              // 000000006784: D2A24031 00025D2D
	v_accvgpr_write_b32 a22, v48                               // 00000000678C: D3D94016 18000130
	v_accvgpr_write_b32 a23, v49                               // 000000006794: D3D94017 18000131
	s_nop 3                                                    // 00000000679C: BF800003
	v_mfma_f32_16x16x32_fp8_fp8 v[160:163], a[22:23], v[134:135], v[160:163]// 0000000067A0: D3F300A0 0E830D16
	v_mfma_f32_16x16x32_fp8_fp8 v[164:167], a[16:17], v[136:137], 0// 0000000067A8: D3F300A4 0A031110
	v_mfma_f32_16x16x32_fp8_fp8 v[164:167], a[18:19], v[138:139], v[164:167]// 0000000067B0: D3F300A4 0E931512
	v_mfma_f32_16x16x32_fp8_fp8 v[164:167], a[20:21], v[140:141], v[164:167]// 0000000067B8: D3F300A4 0E931914
	v_mfma_f32_16x16x32_fp8_fp8 v[164:167], a[22:23], v[142:143], v[164:167]// 0000000067C0: D3F300A4 0E931D16
	v_accvgpr_read_b32 v44, a28                                // 0000000067C8: D3D8402C 1800011C
	v_cvt_off_f32_i4_e32 v45, v44                              // 0000000067D0: 7E5A1D2C
	v_cvt_off_f32_i4_sdwa v46, v44 dst_sel:DWORD dst_unused:UNUSED_PRESERVE src0_sel:BYTE_2// 0000000067D4: 7E5C1CF9 0002162C
	v_cvt_pk_fp8_f32 v48, v45, v46                             // 0000000067DC: D2A20030 00025D2D
	v_cvt_off_f32_i4_sdwa v45, v44 dst_sel:DWORD dst_unused:UNUSED_PRESERVE src0_sel:BYTE_1// 0000000067E4: 7E5A1CF9 0001162C
	v_cvt_off_f32_i4_sdwa v46, v44 dst_sel:DWORD dst_unused:UNUSED_PRESERVE src0_sel:BYTE_3// 0000000067EC: 7E5C1CF9 0003162C
	v_cvt_pk_fp8_f32 v49, v45, v46                             // 0000000067F4: D2A20031 00025D2D
	v_lshrrev_b32_e32 v47, 4, v44                              // 0000000067FC: 205E5884
	v_cvt_off_f32_i4_e32 v45, v47                              // 000000006800: 7E5A1D2F
	v_cvt_off_f32_i4_sdwa v46, v47 dst_sel:DWORD dst_unused:UNUSED_PRESERVE src0_sel:BYTE_2// 000000006804: 7E5C1CF9 0002162F
	v_cvt_pk_fp8_f32 v48, v45, v46 op_sel:[0,0,1]              // 00000000680C: D2A24030 00025D2D
	v_cvt_off_f32_i4_sdwa v45, v47 dst_sel:DWORD dst_unused:UNUSED_PRESERVE src0_sel:BYTE_1// 000000006814: 7E5A1CF9 0001162F
	v_cvt_off_f32_i4_sdwa v46, v47 dst_sel:DWORD dst_unused:UNUSED_PRESERVE src0_sel:BYTE_3// 00000000681C: 7E5C1CF9 0003162F
	v_cvt_pk_fp8_f32 v49, v45, v46 op_sel:[0,0,1]              // 000000006824: D2A24031 00025D2D
	v_accvgpr_write_b32 a24, v48                               // 00000000682C: D3D94018 18000130
	v_accvgpr_write_b32 a25, v49                               // 000000006834: D3D94019 18000131
	s_nop 3                                                    // 00000000683C: BF800003
	v_mfma_f32_16x16x32_fp8_fp8 v[168:171], a[24:25], v[128:129], 0// 000000006840: D3F300A8 0A030118
	v_accvgpr_read_b32 v44, a29                                // 000000006848: D3D8402C 1800011D
	v_cvt_off_f32_i4_e32 v45, v44                              // 000000006850: 7E5A1D2C
	v_cvt_off_f32_i4_sdwa v46, v44 dst_sel:DWORD dst_unused:UNUSED_PRESERVE src0_sel:BYTE_2// 000000006854: 7E5C1CF9 0002162C
	v_cvt_pk_fp8_f32 v48, v45, v46                             // 00000000685C: D2A20030 00025D2D
	v_cvt_off_f32_i4_sdwa v45, v44 dst_sel:DWORD dst_unused:UNUSED_PRESERVE src0_sel:BYTE_1// 000000006864: 7E5A1CF9 0001162C
	v_cvt_off_f32_i4_sdwa v46, v44 dst_sel:DWORD dst_unused:UNUSED_PRESERVE src0_sel:BYTE_3// 00000000686C: 7E5C1CF9 0003162C
	v_cvt_pk_fp8_f32 v49, v45, v46                             // 000000006874: D2A20031 00025D2D
	v_lshrrev_b32_e32 v47, 4, v44                              // 00000000687C: 205E5884
	v_cvt_off_f32_i4_e32 v45, v47                              // 000000006880: 7E5A1D2F
	v_cvt_off_f32_i4_sdwa v46, v47 dst_sel:DWORD dst_unused:UNUSED_PRESERVE src0_sel:BYTE_2// 000000006884: 7E5C1CF9 0002162F
	v_cvt_pk_fp8_f32 v48, v45, v46 op_sel:[0,0,1]              // 00000000688C: D2A24030 00025D2D
	v_cvt_off_f32_i4_sdwa v45, v47 dst_sel:DWORD dst_unused:UNUSED_PRESERVE src0_sel:BYTE_1// 000000006894: 7E5A1CF9 0001162F
	v_cvt_off_f32_i4_sdwa v46, v47 dst_sel:DWORD dst_unused:UNUSED_PRESERVE src0_sel:BYTE_3// 00000000689C: 7E5C1CF9 0003162F
	v_cvt_pk_fp8_f32 v49, v45, v46 op_sel:[0,0,1]              // 0000000068A4: D2A24031 00025D2D
	v_accvgpr_write_b32 a26, v48                               // 0000000068AC: D3D9401A 18000130
	v_accvgpr_write_b32 a27, v49                               // 0000000068B4: D3D9401B 18000131
	s_nop 3                                                    // 0000000068BC: BF800003
	v_mfma_f32_16x16x32_fp8_fp8 v[168:171], a[26:27], v[130:131], v[168:171]// 0000000068C0: D3F300A8 0EA3051A
	buffer_load_dwordx4 a[60:63], v37, s[12:15], 0 offen       // 0000000068C8: E05C1000 80833C25
	v_accvgpr_read_b32 v44, a30                                // 0000000068D0: D3D8402C 1800011E
	v_cvt_off_f32_i4_e32 v45, v44                              // 0000000068D8: 7E5A1D2C
	v_cvt_off_f32_i4_sdwa v46, v44 dst_sel:DWORD dst_unused:UNUSED_PRESERVE src0_sel:BYTE_2// 0000000068DC: 7E5C1CF9 0002162C
	v_cvt_pk_fp8_f32 v48, v45, v46                             // 0000000068E4: D2A20030 00025D2D
	v_cvt_off_f32_i4_sdwa v45, v44 dst_sel:DWORD dst_unused:UNUSED_PRESERVE src0_sel:BYTE_1// 0000000068EC: 7E5A1CF9 0001162C
	v_cvt_off_f32_i4_sdwa v46, v44 dst_sel:DWORD dst_unused:UNUSED_PRESERVE src0_sel:BYTE_3// 0000000068F4: 7E5C1CF9 0003162C
	v_cvt_pk_fp8_f32 v49, v45, v46                             // 0000000068FC: D2A20031 00025D2D
	v_lshrrev_b32_e32 v47, 4, v44                              // 000000006904: 205E5884
	v_cvt_off_f32_i4_e32 v45, v47                              // 000000006908: 7E5A1D2F
	v_cvt_off_f32_i4_sdwa v46, v47 dst_sel:DWORD dst_unused:UNUSED_PRESERVE src0_sel:BYTE_2// 00000000690C: 7E5C1CF9 0002162F
	v_cvt_pk_fp8_f32 v48, v45, v46 op_sel:[0,0,1]              // 000000006914: D2A24030 00025D2D
	v_cvt_off_f32_i4_sdwa v45, v47 dst_sel:DWORD dst_unused:UNUSED_PRESERVE src0_sel:BYTE_1// 00000000691C: 7E5A1CF9 0001162F
	v_cvt_off_f32_i4_sdwa v46, v47 dst_sel:DWORD dst_unused:UNUSED_PRESERVE src0_sel:BYTE_3// 000000006924: 7E5C1CF9 0003162F
	v_cvt_pk_fp8_f32 v49, v45, v46 op_sel:[0,0,1]              // 00000000692C: D2A24031 00025D2D
	v_accvgpr_write_b32 a28, v48                               // 000000006934: D3D9401C 18000130
	v_accvgpr_write_b32 a29, v49                               // 00000000693C: D3D9401D 18000131
	s_nop 3                                                    // 000000006944: BF800003
	v_mfma_f32_16x16x32_fp8_fp8 v[168:171], a[28:29], v[132:133], v[168:171]// 000000006948: D3F300A8 0EA3091C
	v_accvgpr_read_b32 v44, a31                                // 000000006950: D3D8402C 1800011F
	v_cvt_off_f32_i4_e32 v45, v44                              // 000000006958: 7E5A1D2C
	v_cvt_off_f32_i4_sdwa v46, v44 dst_sel:DWORD dst_unused:UNUSED_PRESERVE src0_sel:BYTE_2// 00000000695C: 7E5C1CF9 0002162C
	v_cvt_pk_fp8_f32 v48, v45, v46                             // 000000006964: D2A20030 00025D2D
	v_cvt_off_f32_i4_sdwa v45, v44 dst_sel:DWORD dst_unused:UNUSED_PRESERVE src0_sel:BYTE_1// 00000000696C: 7E5A1CF9 0001162C
	v_cvt_off_f32_i4_sdwa v46, v44 dst_sel:DWORD dst_unused:UNUSED_PRESERVE src0_sel:BYTE_3// 000000006974: 7E5C1CF9 0003162C
	v_cvt_pk_fp8_f32 v49, v45, v46                             // 00000000697C: D2A20031 00025D2D
	v_lshrrev_b32_e32 v47, 4, v44                              // 000000006984: 205E5884
	v_cvt_off_f32_i4_e32 v45, v47                              // 000000006988: 7E5A1D2F
	v_cvt_off_f32_i4_sdwa v46, v47 dst_sel:DWORD dst_unused:UNUSED_PRESERVE src0_sel:BYTE_2// 00000000698C: 7E5C1CF9 0002162F
	v_cvt_pk_fp8_f32 v48, v45, v46 op_sel:[0,0,1]              // 000000006994: D2A24030 00025D2D
	v_cvt_off_f32_i4_sdwa v45, v47 dst_sel:DWORD dst_unused:UNUSED_PRESERVE src0_sel:BYTE_1// 00000000699C: 7E5A1CF9 0001162F
	v_cvt_off_f32_i4_sdwa v46, v47 dst_sel:DWORD dst_unused:UNUSED_PRESERVE src0_sel:BYTE_3// 0000000069A4: 7E5C1CF9 0003162F
	v_cvt_pk_fp8_f32 v49, v45, v46 op_sel:[0,0,1]              // 0000000069AC: D2A24031 00025D2D
	v_accvgpr_write_b32 a30, v48                               // 0000000069B4: D3D9401E 18000130
	v_accvgpr_write_b32 a31, v49                               // 0000000069BC: D3D9401F 18000131
	s_nop 3                                                    // 0000000069C4: BF800003
	v_mfma_f32_16x16x32_fp8_fp8 v[168:171], a[30:31], v[134:135], v[168:171]// 0000000069C8: D3F300A8 0EA30D1E
	v_mfma_f32_16x16x32_fp8_fp8 v[172:175], a[24:25], v[136:137], 0// 0000000069D0: D3F300AC 0A031118
	v_mfma_f32_16x16x32_fp8_fp8 v[172:175], a[26:27], v[138:139], v[172:175]// 0000000069D8: D3F300AC 0EB3151A
	v_mfma_f32_16x16x32_fp8_fp8 v[172:175], a[28:29], v[140:141], v[172:175]// 0000000069E0: D3F300AC 0EB3191C
	v_mfma_f32_16x16x32_fp8_fp8 v[172:175], a[30:31], v[142:143], v[172:175]// 0000000069E8: D3F300AC 0EB31D1E
	s_add_u32 s60, 0x200, s80                                  // 0000000069F0: 803C50FF 00000200
	s_cmp_lt_u32 s60, s81                                      // 0000000069F8: BF0A513C
	s_cselect_b32 s56, s56, 0                                  // 0000000069FC: 85388038
	s_cselect_b32 s78, s78, 0                                  // 000000006A00: 854E804E
	s_cselect_b32 s79, s79, 0                                  // 000000006A04: 854F804F
	s_add_u32 s12, s56, s12                                    // 000000006A08: 800C0C38
	s_addc_u32 s13, 0, s13                                     // 000000006A0C: 820D0D80
	s_add_u32 s16, s79, s16                                    // 000000006A10: 8010104F
	s_addc_u32 s17, 0, s17                                     // 000000006A14: 82111180
	v_mul_f32_e32 v144, v22, v144                              // 000000006A18: 0B212116
	v_mul_f32_e32 v144, 0x41800000, v144                       // 000000006A1C: 0B2120FF 41800000
	v_mul_f32_e32 v145, v22, v145                              // 000000006A24: 0B232316
	v_mul_f32_e32 v145, 0x41800000, v145                       // 000000006A28: 0B2322FF 41800000
	v_mul_f32_e32 v146, v22, v146                              // 000000006A30: 0B252516
	v_mul_f32_e32 v146, 0x41800000, v146                       // 000000006A34: 0B2524FF 41800000
	v_mul_f32_e32 v147, v22, v147                              // 000000006A3C: 0B272716
	v_mul_f32_e32 v147, 0x41800000, v147                       // 000000006A40: 0B2726FF 41800000
	v_mul_f32_dpp v144, v11, v144 row_newbcast:0 row_mask:0xf bank_mask:0xf// 000000006A48: 0B2120FA FF01500B
	v_mul_f32_dpp v145, v11, v145 row_newbcast:1 row_mask:0xf bank_mask:0xf// 000000006A50: 0B2322FA FF01510B
	v_mul_f32_dpp v146, v11, v146 row_newbcast:2 row_mask:0xf bank_mask:0xf// 000000006A58: 0B2524FA FF01520B
	v_mul_f32_dpp v147, v11, v147 row_newbcast:3 row_mask:0xf bank_mask:0xf// 000000006A60: 0B2726FA FF01530B
	v_mul_f32_e32 v144, v17, v144                              // 000000006A68: 0B212111
	v_mul_f32_e32 v145, v17, v145                              // 000000006A6C: 0B232311
	v_mul_f32_e32 v146, v17, v146                              // 000000006A70: 0B252511
	v_mul_f32_e32 v147, v17, v147                              // 000000006A74: 0B272711
	v_mul_f32_e32 v148, v23, v148                              // 000000006A78: 0B292917
	v_mul_f32_e32 v148, 0x41800000, v148                       // 000000006A7C: 0B2928FF 41800000
	v_mul_f32_e32 v149, v23, v149                              // 000000006A84: 0B2B2B17
	v_mul_f32_e32 v149, 0x41800000, v149                       // 000000006A88: 0B2B2AFF 41800000
	v_mul_f32_e32 v150, v23, v150                              // 000000006A90: 0B2D2D17
	v_mul_f32_e32 v150, 0x41800000, v150                       // 000000006A94: 0B2D2CFF 41800000
	v_mul_f32_e32 v151, v23, v151                              // 000000006A9C: 0B2F2F17
	v_mul_f32_e32 v151, 0x41800000, v151                       // 000000006AA0: 0B2F2EFF 41800000
	v_mul_f32_dpp v148, v11, v148 row_newbcast:0 row_mask:0xf bank_mask:0xf// 000000006AA8: 0B2928FA FF01500B
	v_mul_f32_dpp v149, v11, v149 row_newbcast:1 row_mask:0xf bank_mask:0xf// 000000006AB0: 0B2B2AFA FF01510B
	v_mul_f32_dpp v150, v11, v150 row_newbcast:2 row_mask:0xf bank_mask:0xf// 000000006AB8: 0B2D2CFA FF01520B
	v_mul_f32_dpp v151, v11, v151 row_newbcast:3 row_mask:0xf bank_mask:0xf// 000000006AC0: 0B2F2EFA FF01530B
	v_mul_f32_e32 v148, v18, v148                              // 000000006AC8: 0B292912
	v_mul_f32_e32 v149, v18, v149                              // 000000006ACC: 0B2B2B12
	v_mul_f32_e32 v150, v18, v150                              // 000000006AD0: 0B2D2D12
	v_mul_f32_e32 v151, v18, v151                              // 000000006AD4: 0B2F2F12
	v_mul_f32_e32 v152, v22, v152                              // 000000006AD8: 0B313116
	v_mul_f32_e32 v152, 0x41800000, v152                       // 000000006ADC: 0B3130FF 41800000
	v_mul_f32_e32 v153, v22, v153                              // 000000006AE4: 0B333316
	v_mul_f32_e32 v153, 0x41800000, v153                       // 000000006AE8: 0B3332FF 41800000
	v_mul_f32_e32 v154, v22, v154                              // 000000006AF0: 0B353516
	v_mul_f32_e32 v154, 0x41800000, v154                       // 000000006AF4: 0B3534FF 41800000
	v_mul_f32_e32 v155, v22, v155                              // 000000006AFC: 0B373716
	v_mul_f32_e32 v155, 0x41800000, v155                       // 000000006B00: 0B3736FF 41800000
	v_mul_f32_dpp v152, v11, v152 row_newbcast:4 row_mask:0xf bank_mask:0xf// 000000006B08: 0B3130FA FF01540B
	v_mul_f32_dpp v153, v11, v153 row_newbcast:5 row_mask:0xf bank_mask:0xf// 000000006B10: 0B3332FA FF01550B
	v_mul_f32_dpp v154, v11, v154 row_newbcast:6 row_mask:0xf bank_mask:0xf// 000000006B18: 0B3534FA FF01560B
	v_mul_f32_dpp v155, v11, v155 row_newbcast:7 row_mask:0xf bank_mask:0xf// 000000006B20: 0B3736FA FF01570B
	v_mul_f32_e32 v152, v17, v152                              // 000000006B28: 0B313111
	v_mul_f32_e32 v153, v17, v153                              // 000000006B2C: 0B333311
	v_mul_f32_e32 v154, v17, v154                              // 000000006B30: 0B353511
	v_mul_f32_e32 v155, v17, v155                              // 000000006B34: 0B373711
	v_mul_f32_e32 v156, v23, v156                              // 000000006B38: 0B393917
	v_mul_f32_e32 v156, 0x41800000, v156                       // 000000006B3C: 0B3938FF 41800000
	v_mul_f32_e32 v157, v23, v157                              // 000000006B44: 0B3B3B17
	v_mul_f32_e32 v157, 0x41800000, v157                       // 000000006B48: 0B3B3AFF 41800000
	v_mul_f32_e32 v158, v23, v158                              // 000000006B50: 0B3D3D17
	v_mul_f32_e32 v158, 0x41800000, v158                       // 000000006B54: 0B3D3CFF 41800000
	v_mul_f32_e32 v159, v23, v159                              // 000000006B5C: 0B3F3F17
	v_mul_f32_e32 v159, 0x41800000, v159                       // 000000006B60: 0B3F3EFF 41800000
	v_mul_f32_dpp v156, v11, v156 row_newbcast:4 row_mask:0xf bank_mask:0xf// 000000006B68: 0B3938FA FF01540B
	v_mul_f32_dpp v157, v11, v157 row_newbcast:5 row_mask:0xf bank_mask:0xf// 000000006B70: 0B3B3AFA FF01550B
	v_mul_f32_dpp v158, v11, v158 row_newbcast:6 row_mask:0xf bank_mask:0xf// 000000006B78: 0B3D3CFA FF01560B
	v_mul_f32_dpp v159, v11, v159 row_newbcast:7 row_mask:0xf bank_mask:0xf// 000000006B80: 0B3F3EFA FF01570B
	v_mul_f32_e32 v156, v18, v156                              // 000000006B88: 0B393912
	v_mul_f32_e32 v157, v18, v157                              // 000000006B8C: 0B3B3B12
	v_mul_f32_e32 v158, v18, v158                              // 000000006B90: 0B3D3D12
	v_mul_f32_e32 v159, v18, v159                              // 000000006B94: 0B3F3F12
	v_mul_f32_e32 v160, v22, v160                              // 000000006B98: 0B414116
	v_mul_f32_e32 v160, 0x41800000, v160                       // 000000006B9C: 0B4140FF 41800000
	v_mul_f32_e32 v161, v22, v161                              // 000000006BA4: 0B434316
	v_mul_f32_e32 v161, 0x41800000, v161                       // 000000006BA8: 0B4342FF 41800000
	v_mul_f32_e32 v162, v22, v162                              // 000000006BB0: 0B454516
	v_mul_f32_e32 v162, 0x41800000, v162                       // 000000006BB4: 0B4544FF 41800000
	v_mul_f32_e32 v163, v22, v163                              // 000000006BBC: 0B474716
	v_mul_f32_e32 v163, 0x41800000, v163                       // 000000006BC0: 0B4746FF 41800000
	v_mul_f32_dpp v160, v11, v160 row_newbcast:8 row_mask:0xf bank_mask:0xf// 000000006BC8: 0B4140FA FF01580B
	v_mul_f32_dpp v161, v11, v161 row_newbcast:9 row_mask:0xf bank_mask:0xf// 000000006BD0: 0B4342FA FF01590B
	v_mul_f32_dpp v162, v11, v162 row_newbcast:10 row_mask:0xf bank_mask:0xf// 000000006BD8: 0B4544FA FF015A0B
	v_mul_f32_dpp v163, v11, v163 row_newbcast:11 row_mask:0xf bank_mask:0xf// 000000006BE0: 0B4746FA FF015B0B
	v_mul_f32_e32 v160, v17, v160                              // 000000006BE8: 0B414111
	v_mul_f32_e32 v161, v17, v161                              // 000000006BEC: 0B434311
	v_mul_f32_e32 v162, v17, v162                              // 000000006BF0: 0B454511
	v_mul_f32_e32 v163, v17, v163                              // 000000006BF4: 0B474711
	v_mul_f32_e32 v164, v23, v164                              // 000000006BF8: 0B494917
	v_mul_f32_e32 v164, 0x41800000, v164                       // 000000006BFC: 0B4948FF 41800000
	v_mul_f32_e32 v165, v23, v165                              // 000000006C04: 0B4B4B17
	v_mul_f32_e32 v165, 0x41800000, v165                       // 000000006C08: 0B4B4AFF 41800000
	v_mul_f32_e32 v166, v23, v166                              // 000000006C10: 0B4D4D17
	v_mul_f32_e32 v166, 0x41800000, v166                       // 000000006C14: 0B4D4CFF 41800000
	v_mul_f32_e32 v167, v23, v167                              // 000000006C1C: 0B4F4F17
	v_mul_f32_e32 v167, 0x41800000, v167                       // 000000006C20: 0B4F4EFF 41800000
	v_mul_f32_dpp v164, v11, v164 row_newbcast:8 row_mask:0xf bank_mask:0xf// 000000006C28: 0B4948FA FF01580B
	v_mul_f32_dpp v165, v11, v165 row_newbcast:9 row_mask:0xf bank_mask:0xf// 000000006C30: 0B4B4AFA FF01590B
	v_mul_f32_dpp v166, v11, v166 row_newbcast:10 row_mask:0xf bank_mask:0xf// 000000006C38: 0B4D4CFA FF015A0B
	v_mul_f32_dpp v167, v11, v167 row_newbcast:11 row_mask:0xf bank_mask:0xf// 000000006C40: 0B4F4EFA FF015B0B
	v_mul_f32_e32 v164, v18, v164                              // 000000006C48: 0B494912
	v_mul_f32_e32 v165, v18, v165                              // 000000006C4C: 0B4B4B12
	v_mul_f32_e32 v166, v18, v166                              // 000000006C50: 0B4D4D12
	v_mul_f32_e32 v167, v18, v167                              // 000000006C54: 0B4F4F12
	v_mul_f32_e32 v168, v22, v168                              // 000000006C58: 0B515116
	v_mul_f32_e32 v168, 0x41800000, v168                       // 000000006C5C: 0B5150FF 41800000
	v_mul_f32_e32 v169, v22, v169                              // 000000006C64: 0B535316
	v_mul_f32_e32 v169, 0x41800000, v169                       // 000000006C68: 0B5352FF 41800000
	v_mul_f32_e32 v170, v22, v170                              // 000000006C70: 0B555516
	v_mul_f32_e32 v170, 0x41800000, v170                       // 000000006C74: 0B5554FF 41800000
	v_mul_f32_e32 v171, v22, v171                              // 000000006C7C: 0B575716
	v_mul_f32_e32 v171, 0x41800000, v171                       // 000000006C80: 0B5756FF 41800000
	v_mul_f32_dpp v168, v11, v168 row_newbcast:12 row_mask:0xf bank_mask:0xf// 000000006C88: 0B5150FA FF015C0B
	v_mul_f32_dpp v169, v11, v169 row_newbcast:13 row_mask:0xf bank_mask:0xf// 000000006C90: 0B5352FA FF015D0B
	v_mul_f32_dpp v170, v11, v170 row_newbcast:14 row_mask:0xf bank_mask:0xf// 000000006C98: 0B5554FA FF015E0B
	v_mul_f32_dpp v171, v11, v171 row_newbcast:15 row_mask:0xf bank_mask:0xf// 000000006CA0: 0B5756FA FF015F0B
	v_mul_f32_e32 v168, v17, v168                              // 000000006CA8: 0B515111
	v_mul_f32_e32 v169, v17, v169                              // 000000006CAC: 0B535311
	v_mul_f32_e32 v170, v17, v170                              // 000000006CB0: 0B555511
	v_mul_f32_e32 v171, v17, v171                              // 000000006CB4: 0B575711
	v_mul_f32_e32 v172, v23, v172                              // 000000006CB8: 0B595917
	v_mul_f32_e32 v172, 0x41800000, v172                       // 000000006CBC: 0B5958FF 41800000
	v_mul_f32_e32 v173, v23, v173                              // 000000006CC4: 0B5B5B17
	v_mul_f32_e32 v173, 0x41800000, v173                       // 000000006CC8: 0B5B5AFF 41800000
	v_mul_f32_e32 v174, v23, v174                              // 000000006CD0: 0B5D5D17
	v_mul_f32_e32 v174, 0x41800000, v174                       // 000000006CD4: 0B5D5CFF 41800000
	v_mul_f32_e32 v175, v23, v175                              // 000000006CDC: 0B5F5F17
	v_mul_f32_e32 v175, 0x41800000, v175                       // 000000006CE0: 0B5F5EFF 41800000
	v_mul_f32_dpp v172, v11, v172 row_newbcast:12 row_mask:0xf bank_mask:0xf// 000000006CE8: 0B5958FA FF015C0B
	v_mul_f32_dpp v173, v11, v173 row_newbcast:13 row_mask:0xf bank_mask:0xf// 000000006CF0: 0B5B5AFA FF015D0B
	v_mul_f32_dpp v174, v11, v174 row_newbcast:14 row_mask:0xf bank_mask:0xf// 000000006CF8: 0B5D5CFA FF015E0B
	v_mul_f32_dpp v175, v11, v175 row_newbcast:15 row_mask:0xf bank_mask:0xf// 000000006D00: 0B5F5EFA FF015F0B
	v_mul_f32_e32 v172, v18, v172                              // 000000006D08: 0B595912
	v_mul_f32_e32 v173, v18, v173                              // 000000006D0C: 0B5B5B12
	v_mul_f32_e32 v174, v18, v174                              // 000000006D10: 0B5D5D12
	v_mul_f32_e32 v175, v18, v175                              // 000000006D14: 0B5F5F12
	v_cmp_u_f32_e64 s[48:49], v144, v144                       // 000000006D18: D0480030 00032190
	v_add3_u32 v38, v144, v41, 1                               // 000000006D20: D1FF0026 02065390
	v_cndmask_b32_e64 v44, v38, v40, s[48:49]                  // 000000006D28: D100002C 00C25126
	v_cmp_u_f32_e64 s[48:49], v145, v145                       // 000000006D30: D0480030 00032391
	v_add3_u32 v38, v145, v41, 1                               // 000000006D38: D1FF0026 02065391
	v_cndmask_b32_e64 v45, v38, v40, s[48:49]                  // 000000006D40: D100002D 00C25126
	v_perm_b32 v144, v45, v44, s52                             // 000000006D48: D1ED0090 00D2592D
	v_cmp_u_f32_e64 s[48:49], v146, v146                       // 000000006D50: D0480030 00032592
	v_add3_u32 v38, v146, v41, 1                               // 000000006D58: D1FF0026 02065392
	v_cndmask_b32_e64 v44, v38, v40, s[48:49]                  // 000000006D60: D100002C 00C25126
	v_cmp_u_f32_e64 s[48:49], v147, v147                       // 000000006D68: D0480030 00032793
	v_add3_u32 v38, v147, v41, 1                               // 000000006D70: D1FF0026 02065393
	v_cndmask_b32_e64 v45, v38, v40, s[48:49]                  // 000000006D78: D100002D 00C25126
	v_perm_b32 v145, v45, v44, s52                             // 000000006D80: D1ED0091 00D2592D
	v_cmp_u_f32_e64 s[48:49], v148, v148                       // 000000006D88: D0480030 00032994
	v_add3_u32 v38, v148, v41, 1                               // 000000006D90: D1FF0026 02065394
	v_cndmask_b32_e64 v44, v38, v40, s[48:49]                  // 000000006D98: D100002C 00C25126
	v_cmp_u_f32_e64 s[48:49], v149, v149                       // 000000006DA0: D0480030 00032B95
	v_add3_u32 v38, v149, v41, 1                               // 000000006DA8: D1FF0026 02065395
	v_cndmask_b32_e64 v45, v38, v40, s[48:49]                  // 000000006DB0: D100002D 00C25126
	v_perm_b32 v146, v45, v44, s52                             // 000000006DB8: D1ED0092 00D2592D
	v_cmp_u_f32_e64 s[48:49], v150, v150                       // 000000006DC0: D0480030 00032D96
	v_add3_u32 v38, v150, v41, 1                               // 000000006DC8: D1FF0026 02065396
	v_cndmask_b32_e64 v44, v38, v40, s[48:49]                  // 000000006DD0: D100002C 00C25126
	v_cmp_u_f32_e64 s[48:49], v151, v151                       // 000000006DD8: D0480030 00032F97
	v_add3_u32 v38, v151, v41, 1                               // 000000006DE0: D1FF0026 02065397
	v_cndmask_b32_e64 v45, v38, v40, s[48:49]                  // 000000006DE8: D100002D 00C25126
	v_perm_b32 v147, v45, v44, s52                             // 000000006DF0: D1ED0093 00D2592D
	v_cmp_u_f32_e64 s[48:49], v152, v152                       // 000000006DF8: D0480030 00033198
	v_add3_u32 v38, v152, v41, 1                               // 000000006E00: D1FF0026 02065398
	v_cndmask_b32_e64 v44, v38, v40, s[48:49]                  // 000000006E08: D100002C 00C25126
	v_cmp_u_f32_e64 s[48:49], v153, v153                       // 000000006E10: D0480030 00033399
	v_add3_u32 v38, v153, v41, 1                               // 000000006E18: D1FF0026 02065399
	v_cndmask_b32_e64 v45, v38, v40, s[48:49]                  // 000000006E20: D100002D 00C25126
	v_perm_b32 v148, v45, v44, s52                             // 000000006E28: D1ED0094 00D2592D
	v_cmp_u_f32_e64 s[48:49], v154, v154                       // 000000006E30: D0480030 0003359A
	v_add3_u32 v38, v154, v41, 1                               // 000000006E38: D1FF0026 0206539A
	v_cndmask_b32_e64 v44, v38, v40, s[48:49]                  // 000000006E40: D100002C 00C25126
	v_cmp_u_f32_e64 s[48:49], v155, v155                       // 000000006E48: D0480030 0003379B
	v_add3_u32 v38, v155, v41, 1                               // 000000006E50: D1FF0026 0206539B
	v_cndmask_b32_e64 v45, v38, v40, s[48:49]                  // 000000006E58: D100002D 00C25126
	v_perm_b32 v149, v45, v44, s52                             // 000000006E60: D1ED0095 00D2592D
	v_cmp_u_f32_e64 s[48:49], v156, v156                       // 000000006E68: D0480030 0003399C
	v_add3_u32 v38, v156, v41, 1                               // 000000006E70: D1FF0026 0206539C
	v_cndmask_b32_e64 v44, v38, v40, s[48:49]                  // 000000006E78: D100002C 00C25126
	v_cmp_u_f32_e64 s[48:49], v157, v157                       // 000000006E80: D0480030 00033B9D
	v_add3_u32 v38, v157, v41, 1                               // 000000006E88: D1FF0026 0206539D
	v_cndmask_b32_e64 v45, v38, v40, s[48:49]                  // 000000006E90: D100002D 00C25126
	v_perm_b32 v150, v45, v44, s52                             // 000000006E98: D1ED0096 00D2592D
	v_cmp_u_f32_e64 s[48:49], v158, v158                       // 000000006EA0: D0480030 00033D9E
	v_add3_u32 v38, v158, v41, 1                               // 000000006EA8: D1FF0026 0206539E
	v_cndmask_b32_e64 v44, v38, v40, s[48:49]                  // 000000006EB0: D100002C 00C25126
	v_cmp_u_f32_e64 s[48:49], v159, v159                       // 000000006EB8: D0480030 00033F9F
	v_add3_u32 v38, v159, v41, 1                               // 000000006EC0: D1FF0026 0206539F
	v_cndmask_b32_e64 v45, v38, v40, s[48:49]                  // 000000006EC8: D100002D 00C25126
	v_perm_b32 v151, v45, v44, s52                             // 000000006ED0: D1ED0097 00D2592D
	v_cmp_u_f32_e64 s[48:49], v160, v160                       // 000000006ED8: D0480030 000341A0
	v_add3_u32 v38, v160, v41, 1                               // 000000006EE0: D1FF0026 020653A0
	v_cndmask_b32_e64 v44, v38, v40, s[48:49]                  // 000000006EE8: D100002C 00C25126
	v_cmp_u_f32_e64 s[48:49], v161, v161                       // 000000006EF0: D0480030 000343A1
	v_add3_u32 v38, v161, v41, 1                               // 000000006EF8: D1FF0026 020653A1
	v_cndmask_b32_e64 v45, v38, v40, s[48:49]                  // 000000006F00: D100002D 00C25126
	v_perm_b32 v152, v45, v44, s52                             // 000000006F08: D1ED0098 00D2592D
	v_cmp_u_f32_e64 s[48:49], v162, v162                       // 000000006F10: D0480030 000345A2
	v_add3_u32 v38, v162, v41, 1                               // 000000006F18: D1FF0026 020653A2
	v_cndmask_b32_e64 v44, v38, v40, s[48:49]                  // 000000006F20: D100002C 00C25126
	v_cmp_u_f32_e64 s[48:49], v163, v163                       // 000000006F28: D0480030 000347A3
	v_add3_u32 v38, v163, v41, 1                               // 000000006F30: D1FF0026 020653A3
	v_cndmask_b32_e64 v45, v38, v40, s[48:49]                  // 000000006F38: D100002D 00C25126
	v_perm_b32 v153, v45, v44, s52                             // 000000006F40: D1ED0099 00D2592D
	v_cmp_u_f32_e64 s[48:49], v164, v164                       // 000000006F48: D0480030 000349A4
	v_add3_u32 v38, v164, v41, 1                               // 000000006F50: D1FF0026 020653A4
	v_cndmask_b32_e64 v44, v38, v40, s[48:49]                  // 000000006F58: D100002C 00C25126
	v_cmp_u_f32_e64 s[48:49], v165, v165                       // 000000006F60: D0480030 00034BA5
	v_add3_u32 v38, v165, v41, 1                               // 000000006F68: D1FF0026 020653A5
	v_cndmask_b32_e64 v45, v38, v40, s[48:49]                  // 000000006F70: D100002D 00C25126
	v_perm_b32 v154, v45, v44, s52                             // 000000006F78: D1ED009A 00D2592D
	v_cmp_u_f32_e64 s[48:49], v166, v166                       // 000000006F80: D0480030 00034DA6
	v_add3_u32 v38, v166, v41, 1                               // 000000006F88: D1FF0026 020653A6
	v_cndmask_b32_e64 v44, v38, v40, s[48:49]                  // 000000006F90: D100002C 00C25126
	v_cmp_u_f32_e64 s[48:49], v167, v167                       // 000000006F98: D0480030 00034FA7
	v_add3_u32 v38, v167, v41, 1                               // 000000006FA0: D1FF0026 020653A7
	v_cndmask_b32_e64 v45, v38, v40, s[48:49]                  // 000000006FA8: D100002D 00C25126
	v_perm_b32 v155, v45, v44, s52                             // 000000006FB0: D1ED009B 00D2592D
	v_cmp_u_f32_e64 s[48:49], v168, v168                       // 000000006FB8: D0480030 000351A8
	v_add3_u32 v38, v168, v41, 1                               // 000000006FC0: D1FF0026 020653A8
	v_cndmask_b32_e64 v44, v38, v40, s[48:49]                  // 000000006FC8: D100002C 00C25126
	v_cmp_u_f32_e64 s[48:49], v169, v169                       // 000000006FD0: D0480030 000353A9
	v_add3_u32 v38, v169, v41, 1                               // 000000006FD8: D1FF0026 020653A9
	v_cndmask_b32_e64 v45, v38, v40, s[48:49]                  // 000000006FE0: D100002D 00C25126
	v_perm_b32 v156, v45, v44, s52                             // 000000006FE8: D1ED009C 00D2592D
	v_cmp_u_f32_e64 s[48:49], v170, v170                       // 000000006FF0: D0480030 000355AA
	v_add3_u32 v38, v170, v41, 1                               // 000000006FF8: D1FF0026 020653AA
	v_cndmask_b32_e64 v44, v38, v40, s[48:49]                  // 000000007000: D100002C 00C25126
	v_cmp_u_f32_e64 s[48:49], v171, v171                       // 000000007008: D0480030 000357AB
	v_add3_u32 v38, v171, v41, 1                               // 000000007010: D1FF0026 020653AB
	v_cndmask_b32_e64 v45, v38, v40, s[48:49]                  // 000000007018: D100002D 00C25126
	v_perm_b32 v157, v45, v44, s52                             // 000000007020: D1ED009D 00D2592D
	v_cmp_u_f32_e64 s[48:49], v172, v172                       // 000000007028: D0480030 000359AC
	v_add3_u32 v38, v172, v41, 1                               // 000000007030: D1FF0026 020653AC
	v_cndmask_b32_e64 v44, v38, v40, s[48:49]                  // 000000007038: D100002C 00C25126
	v_cmp_u_f32_e64 s[48:49], v173, v173                       // 000000007040: D0480030 00035BAD
	v_add3_u32 v38, v173, v41, 1                               // 000000007048: D1FF0026 020653AD
	v_cndmask_b32_e64 v45, v38, v40, s[48:49]                  // 000000007050: D100002D 00C25126
	v_perm_b32 v158, v45, v44, s52                             // 000000007058: D1ED009E 00D2592D
	v_cmp_u_f32_e64 s[48:49], v174, v174                       // 000000007060: D0480030 00035DAE
	v_add3_u32 v38, v174, v41, 1                               // 000000007068: D1FF0026 020653AE
	v_cndmask_b32_e64 v44, v38, v40, s[48:49]                  // 000000007070: D100002C 00C25126
	v_cmp_u_f32_e64 s[48:49], v175, v175                       // 000000007078: D0480030 00035FAF
	v_add3_u32 v38, v175, v41, 1                               // 000000007080: D1FF0026 020653AF
	v_cndmask_b32_e64 v45, v38, v40, s[48:49]                  // 000000007088: D100002D 00C25126
	v_perm_b32 v159, v45, v44, s52                             // 000000007090: D1ED009F 00D2592D
	ds_write_b64 v3, v[144:145] offset:22784                   // 000000007098: D89A5900 00009003
	ds_write_b64 v3, v[146:147] offset:31488                   // 0000000070A0: D89A7B00 00009203
	ds_write_b64 v3, v[148:149] offset:24960                   // 0000000070A8: D89A6180 00009403
	ds_write_b64 v3, v[150:151] offset:33664                   // 0000000070B0: D89A8380 00009603
	ds_write_b64 v3, v[152:153] offset:27136                   // 0000000070B8: D89A6A00 00009803
	ds_write_b64 v3, v[154:155] offset:35840                   // 0000000070C0: D89A8C00 00009A03
	ds_write_b64 v3, v[156:157] offset:29312                   // 0000000070C8: D89A7280 00009C03
	ds_write_b64 v3, v[158:159] offset:38016                   // 0000000070D0: D89A9480 00009E03
	s_waitcnt lgkmcnt(0)                                       // 0000000070D8: BF8CC07F
	s_barrier                                                  // 0000000070DC: BF8A0000
	ds_read_b32 v64, v4 offset:22784                           // 0000000070E0: D86C5900 40000004
	ds_read_b32 v65, v4 offset:27136                           // 0000000070E8: D86C6A00 41000004
	ds_read_b32 v66, v4 offset:22816                           // 0000000070F0: D86C5920 42000004
	ds_read_b32 v67, v4 offset:27168                           // 0000000070F8: D86C6A20 43000004
	ds_read_b32 v68, v4 offset:22848                           // 000000007100: D86C5940 44000004
	ds_read_b32 v69, v4 offset:27200                           // 000000007108: D86C6A40 45000004
	ds_read_b32 v70, v4 offset:22880                           // 000000007110: D86C5960 46000004
	ds_read_b32 v71, v4 offset:27232                           // 000000007118: D86C6A60 47000004
	ds_read_b32 v72, v4 offset:31488                           // 000000007120: D86C7B00 48000004
	ds_read_b32 v73, v4 offset:35840                           // 000000007128: D86C8C00 49000004
	ds_read_b32 v74, v4 offset:31520                           // 000000007130: D86C7B20 4A000004
	ds_read_b32 v75, v4 offset:35872                           // 000000007138: D86C8C20 4B000004
	ds_read_b32 v76, v4 offset:31552                           // 000000007140: D86C7B40 4C000004
	ds_read_b32 v77, v4 offset:35904                           // 000000007148: D86C8C40 4D000004
	ds_read_b32 v78, v4 offset:31584                           // 000000007150: D86C7B60 4E000004
	ds_read_b32 v79, v4 offset:35936                           // 000000007158: D86C8C60 4F000004
	s_waitcnt lgkmcnt(0)                                       // 000000007160: BF8CC07F
	s_mov_b64 exec, s[20:21]                                   // 000000007164: BEFE0114
	global_atomic_pk_add_bf16 v80, v64, s[8:9]                 // 000000007168: DD488000 00084050
	s_mov_b64 exec, s[36:37]                                   // 000000007170: BEFE0124
	s_mov_b64 exec, s[20:21]                                   // 000000007174: BEFE0114
	global_atomic_pk_add_bf16 v80, v65, s[8:9] offset:256      // 000000007178: DD488100 00084150
	s_mov_b64 exec, s[36:37]                                   // 000000007180: BEFE0124
	s_mov_b64 exec, s[22:23]                                   // 000000007184: BEFE0116
	global_atomic_pk_add_bf16 v82, v66, s[8:9]                 // 000000007188: DD488000 00084252
	s_mov_b64 exec, s[36:37]                                   // 000000007190: BEFE0124
	s_mov_b64 exec, s[22:23]                                   // 000000007194: BEFE0116
	global_atomic_pk_add_bf16 v82, v67, s[8:9] offset:256      // 000000007198: DD488100 00084352
	s_mov_b64 exec, s[36:37]                                   // 0000000071A0: BEFE0124
	s_mov_b64 exec, s[24:25]                                   // 0000000071A4: BEFE0118
	global_atomic_pk_add_bf16 v84, v68, s[8:9]                 // 0000000071A8: DD488000 00084454
	s_mov_b64 exec, s[36:37]                                   // 0000000071B0: BEFE0124
	s_mov_b64 exec, s[24:25]                                   // 0000000071B4: BEFE0118
	global_atomic_pk_add_bf16 v84, v69, s[8:9] offset:256      // 0000000071B8: DD488100 00084554
	s_mov_b64 exec, s[36:37]                                   // 0000000071C0: BEFE0124
	s_mov_b64 exec, s[26:27]                                   // 0000000071C4: BEFE011A
	global_atomic_pk_add_bf16 v86, v70, s[8:9]                 // 0000000071C8: DD488000 00084656
	s_mov_b64 exec, s[36:37]                                   // 0000000071D0: BEFE0124
	s_mov_b64 exec, s[26:27]                                   // 0000000071D4: BEFE011A
	global_atomic_pk_add_bf16 v86, v71, s[8:9] offset:256      // 0000000071D8: DD488100 00084756
	s_mov_b64 exec, s[36:37]                                   // 0000000071E0: BEFE0124
	s_mov_b64 exec, s[28:29]                                   // 0000000071E4: BEFE011C
	global_atomic_pk_add_bf16 v88, v72, s[8:9]                 // 0000000071E8: DD488000 00084858
	s_mov_b64 exec, s[36:37]                                   // 0000000071F0: BEFE0124
	s_mov_b64 exec, s[28:29]                                   // 0000000071F4: BEFE011C
	global_atomic_pk_add_bf16 v88, v73, s[8:9] offset:256      // 0000000071F8: DD488100 00084958
	s_mov_b64 exec, s[36:37]                                   // 000000007200: BEFE0124
	s_mov_b64 exec, s[30:31]                                   // 000000007204: BEFE011E
	global_atomic_pk_add_bf16 v90, v74, s[8:9]                 // 000000007208: DD488000 00084A5A
	s_mov_b64 exec, s[36:37]                                   // 000000007210: BEFE0124
	s_mov_b64 exec, s[30:31]                                   // 000000007214: BEFE011E
	global_atomic_pk_add_bf16 v90, v75, s[8:9] offset:256      // 000000007218: DD488100 00084B5A
	s_mov_b64 exec, s[36:37]                                   // 000000007220: BEFE0124
	s_mov_b64 exec, s[32:33]                                   // 000000007224: BEFE0120
	global_atomic_pk_add_bf16 v92, v76, s[8:9]                 // 000000007228: DD488000 00084C5C
	s_mov_b64 exec, s[36:37]                                   // 000000007230: BEFE0124
	s_mov_b64 exec, s[32:33]                                   // 000000007234: BEFE0120
	global_atomic_pk_add_bf16 v92, v77, s[8:9] offset:256      // 000000007238: DD488100 00084D5C
	s_mov_b64 exec, s[36:37]                                   // 000000007240: BEFE0124
	s_mov_b64 exec, s[34:35]                                   // 000000007244: BEFE0122
	global_atomic_pk_add_bf16 v94, v78, s[8:9]                 // 000000007248: DD488000 00084E5E
	s_mov_b64 exec, s[36:37]                                   // 000000007250: BEFE0124
	s_mov_b64 exec, s[34:35]                                   // 000000007254: BEFE0122
	global_atomic_pk_add_bf16 v94, v79, s[8:9] offset:256      // 000000007258: DD488100 00084F5E
	s_mov_b64 exec, s[36:37]                                   // 000000007260: BEFE0124
	s_add_u32 s8, s59, s8                                      // 000000007264: 8008083B
	s_addc_u32 s9, 0, s9                                       // 000000007268: 82090980
	s_addk_i32 s80, 0x100                                      // 00000000726C: B7500100
	s_cmp_lt_i32 s80, s81                                      // 000000007270: BF045150
	s_cbranch_scc0 label_162E                                  // 000000007274: BF840450
	s_waitcnt vmcnt(17)                                        // 000000007278: BF8C4F71
	s_barrier                                                  // 00000000727C: BF8A0000
	s_waitcnt vmcnt(16)                                        // 000000007280: BF8C4F70
	v_accvgpr_read_b32 v44, a48                                // 000000007284: D3D8402C 18000130
	v_cvt_off_f32_i4_e32 v45, v44                              // 00000000728C: 7E5A1D2C
	v_cvt_off_f32_i4_sdwa v46, v44 dst_sel:DWORD dst_unused:UNUSED_PRESERVE src0_sel:BYTE_2// 000000007290: 7E5C1CF9 0002162C
	v_cvt_pk_fp8_f32 v48, v45, v46                             // 000000007298: D2A20030 00025D2D
	v_cvt_off_f32_i4_sdwa v45, v44 dst_sel:DWORD dst_unused:UNUSED_PRESERVE src0_sel:BYTE_1// 0000000072A0: 7E5A1CF9 0001162C
	v_cvt_off_f32_i4_sdwa v46, v44 dst_sel:DWORD dst_unused:UNUSED_PRESERVE src0_sel:BYTE_3// 0000000072A8: 7E5C1CF9 0003162C
	v_cvt_pk_fp8_f32 v49, v45, v46                             // 0000000072B0: D2A20031 00025D2D
	v_lshrrev_b32_e32 v47, 4, v44                              // 0000000072B8: 205E5884
	v_cvt_off_f32_i4_e32 v45, v47                              // 0000000072BC: 7E5A1D2F
	v_cvt_off_f32_i4_sdwa v46, v47 dst_sel:DWORD dst_unused:UNUSED_PRESERVE src0_sel:BYTE_2// 0000000072C0: 7E5C1CF9 0002162F
	v_cvt_pk_fp8_f32 v48, v45, v46 op_sel:[0,0,1]              // 0000000072C8: D2A24030 00025D2D
	v_cvt_off_f32_i4_sdwa v45, v47 dst_sel:DWORD dst_unused:UNUSED_PRESERVE src0_sel:BYTE_1// 0000000072D0: 7E5A1CF9 0001162F
	v_cvt_off_f32_i4_sdwa v46, v47 dst_sel:DWORD dst_unused:UNUSED_PRESERVE src0_sel:BYTE_3// 0000000072D8: 7E5C1CF9 0003162F
	v_cvt_pk_fp8_f32 v49, v45, v46 op_sel:[0,0,1]              // 0000000072E0: D2A24031 00025D2D
	v_accvgpr_write_b32 a32, v48                               // 0000000072E8: D3D94020 18000130
	v_accvgpr_write_b32 a33, v49                               // 0000000072F0: D3D94021 18000131
	s_nop 3                                                    // 0000000072F8: BF800003
	v_mfma_f32_16x16x32_fp8_fp8 v[176:179], a[32:33], v[128:129], 0// 0000000072FC: D3F300B0 0A030120
	v_accvgpr_read_b32 v44, a49                                // 000000007304: D3D8402C 18000131
	v_cvt_off_f32_i4_e32 v45, v44                              // 00000000730C: 7E5A1D2C
	v_cvt_off_f32_i4_sdwa v46, v44 dst_sel:DWORD dst_unused:UNUSED_PRESERVE src0_sel:BYTE_2// 000000007310: 7E5C1CF9 0002162C
	v_cvt_pk_fp8_f32 v48, v45, v46                             // 000000007318: D2A20030 00025D2D
	v_cvt_off_f32_i4_sdwa v45, v44 dst_sel:DWORD dst_unused:UNUSED_PRESERVE src0_sel:BYTE_1// 000000007320: 7E5A1CF9 0001162C
	v_cvt_off_f32_i4_sdwa v46, v44 dst_sel:DWORD dst_unused:UNUSED_PRESERVE src0_sel:BYTE_3// 000000007328: 7E5C1CF9 0003162C
	v_cvt_pk_fp8_f32 v49, v45, v46                             // 000000007330: D2A20031 00025D2D
	v_lshrrev_b32_e32 v47, 4, v44                              // 000000007338: 205E5884
	v_cvt_off_f32_i4_e32 v45, v47                              // 00000000733C: 7E5A1D2F
	v_cvt_off_f32_i4_sdwa v46, v47 dst_sel:DWORD dst_unused:UNUSED_PRESERVE src0_sel:BYTE_2// 000000007340: 7E5C1CF9 0002162F
	v_cvt_pk_fp8_f32 v48, v45, v46 op_sel:[0,0,1]              // 000000007348: D2A24030 00025D2D
	v_cvt_off_f32_i4_sdwa v45, v47 dst_sel:DWORD dst_unused:UNUSED_PRESERVE src0_sel:BYTE_1// 000000007350: 7E5A1CF9 0001162F
	v_cvt_off_f32_i4_sdwa v46, v47 dst_sel:DWORD dst_unused:UNUSED_PRESERVE src0_sel:BYTE_3// 000000007358: 7E5C1CF9 0003162F
	v_cvt_pk_fp8_f32 v49, v45, v46 op_sel:[0,0,1]              // 000000007360: D2A24031 00025D2D
	v_accvgpr_write_b32 a34, v48                               // 000000007368: D3D94022 18000130
	v_accvgpr_write_b32 a35, v49                               // 000000007370: D3D94023 18000131
	s_nop 3                                                    // 000000007378: BF800003
	v_mfma_f32_16x16x32_fp8_fp8 v[176:179], a[34:35], v[130:131], v[176:179]// 00000000737C: D3F300B0 0EC30522
	buffer_load_dwordx4 a[16:19], v34, s[12:15], 0 offen       // 000000007384: E05C1000 80831022
	v_accvgpr_read_b32 v44, a50                                // 00000000738C: D3D8402C 18000132
	v_cvt_off_f32_i4_e32 v45, v44                              // 000000007394: 7E5A1D2C
	v_cvt_off_f32_i4_sdwa v46, v44 dst_sel:DWORD dst_unused:UNUSED_PRESERVE src0_sel:BYTE_2// 000000007398: 7E5C1CF9 0002162C
	v_cvt_pk_fp8_f32 v48, v45, v46                             // 0000000073A0: D2A20030 00025D2D
	v_cvt_off_f32_i4_sdwa v45, v44 dst_sel:DWORD dst_unused:UNUSED_PRESERVE src0_sel:BYTE_1// 0000000073A8: 7E5A1CF9 0001162C
	v_cvt_off_f32_i4_sdwa v46, v44 dst_sel:DWORD dst_unused:UNUSED_PRESERVE src0_sel:BYTE_3// 0000000073B0: 7E5C1CF9 0003162C
	v_cvt_pk_fp8_f32 v49, v45, v46                             // 0000000073B8: D2A20031 00025D2D
	v_lshrrev_b32_e32 v47, 4, v44                              // 0000000073C0: 205E5884
	v_cvt_off_f32_i4_e32 v45, v47                              // 0000000073C4: 7E5A1D2F
	v_cvt_off_f32_i4_sdwa v46, v47 dst_sel:DWORD dst_unused:UNUSED_PRESERVE src0_sel:BYTE_2// 0000000073C8: 7E5C1CF9 0002162F
	v_cvt_pk_fp8_f32 v48, v45, v46 op_sel:[0,0,1]              // 0000000073D0: D2A24030 00025D2D
	v_cvt_off_f32_i4_sdwa v45, v47 dst_sel:DWORD dst_unused:UNUSED_PRESERVE src0_sel:BYTE_1// 0000000073D8: 7E5A1CF9 0001162F
	v_cvt_off_f32_i4_sdwa v46, v47 dst_sel:DWORD dst_unused:UNUSED_PRESERVE src0_sel:BYTE_3// 0000000073E0: 7E5C1CF9 0003162F
	v_cvt_pk_fp8_f32 v49, v45, v46 op_sel:[0,0,1]              // 0000000073E8: D2A24031 00025D2D
	v_accvgpr_write_b32 a36, v48                               // 0000000073F0: D3D94024 18000130
	v_accvgpr_write_b32 a37, v49                               // 0000000073F8: D3D94025 18000131
	s_nop 3                                                    // 000000007400: BF800003
	v_mfma_f32_16x16x32_fp8_fp8 v[176:179], a[36:37], v[132:133], v[176:179]// 000000007404: D3F300B0 0EC30924
	v_accvgpr_read_b32 v44, a51                                // 00000000740C: D3D8402C 18000133
	v_cvt_off_f32_i4_e32 v45, v44                              // 000000007414: 7E5A1D2C
	v_cvt_off_f32_i4_sdwa v46, v44 dst_sel:DWORD dst_unused:UNUSED_PRESERVE src0_sel:BYTE_2// 000000007418: 7E5C1CF9 0002162C
	v_cvt_pk_fp8_f32 v48, v45, v46                             // 000000007420: D2A20030 00025D2D
	v_cvt_off_f32_i4_sdwa v45, v44 dst_sel:DWORD dst_unused:UNUSED_PRESERVE src0_sel:BYTE_1// 000000007428: 7E5A1CF9 0001162C
	v_cvt_off_f32_i4_sdwa v46, v44 dst_sel:DWORD dst_unused:UNUSED_PRESERVE src0_sel:BYTE_3// 000000007430: 7E5C1CF9 0003162C
	v_cvt_pk_fp8_f32 v49, v45, v46                             // 000000007438: D2A20031 00025D2D
	v_lshrrev_b32_e32 v47, 4, v44                              // 000000007440: 205E5884
	v_cvt_off_f32_i4_e32 v45, v47                              // 000000007444: 7E5A1D2F
	v_cvt_off_f32_i4_sdwa v46, v47 dst_sel:DWORD dst_unused:UNUSED_PRESERVE src0_sel:BYTE_2// 000000007448: 7E5C1CF9 0002162F
	v_cvt_pk_fp8_f32 v48, v45, v46 op_sel:[0,0,1]              // 000000007450: D2A24030 00025D2D
	v_cvt_off_f32_i4_sdwa v45, v47 dst_sel:DWORD dst_unused:UNUSED_PRESERVE src0_sel:BYTE_1// 000000007458: 7E5A1CF9 0001162F
	v_cvt_off_f32_i4_sdwa v46, v47 dst_sel:DWORD dst_unused:UNUSED_PRESERVE src0_sel:BYTE_3// 000000007460: 7E5C1CF9 0003162F
	v_cvt_pk_fp8_f32 v49, v45, v46 op_sel:[0,0,1]              // 000000007468: D2A24031 00025D2D
	v_accvgpr_write_b32 a38, v48                               // 000000007470: D3D94026 18000130
	v_accvgpr_write_b32 a39, v49                               // 000000007478: D3D94027 18000131
	s_nop 3                                                    // 000000007480: BF800003
	v_mfma_f32_16x16x32_fp8_fp8 v[176:179], a[38:39], v[134:135], v[176:179]// 000000007484: D3F300B0 0EC30D26
	buffer_load_dword v11, v5, s[16:19], 0 offen               // 00000000748C: E0501000 80040B05
	v_mfma_f32_16x16x32_fp8_fp8 v[180:183], a[32:33], v[136:137], 0// 000000007494: D3F300B4 0A031120
	v_mfma_f32_16x16x32_fp8_fp8 v[180:183], a[34:35], v[138:139], v[180:183]// 00000000749C: D3F300B4 0ED31522
	v_mfma_f32_16x16x32_fp8_fp8 v[180:183], a[36:37], v[140:141], v[180:183]// 0000000074A4: D3F300B4 0ED31924
	v_mfma_f32_16x16x32_fp8_fp8 v[180:183], a[38:39], v[142:143], v[180:183]// 0000000074AC: D3F300B4 0ED31D26
	v_accvgpr_read_b32 v44, a52                                // 0000000074B4: D3D8402C 18000134
	v_cvt_off_f32_i4_e32 v45, v44                              // 0000000074BC: 7E5A1D2C
	v_cvt_off_f32_i4_sdwa v46, v44 dst_sel:DWORD dst_unused:UNUSED_PRESERVE src0_sel:BYTE_2// 0000000074C0: 7E5C1CF9 0002162C
	v_cvt_pk_fp8_f32 v48, v45, v46                             // 0000000074C8: D2A20030 00025D2D
	v_cvt_off_f32_i4_sdwa v45, v44 dst_sel:DWORD dst_unused:UNUSED_PRESERVE src0_sel:BYTE_1// 0000000074D0: 7E5A1CF9 0001162C
	v_cvt_off_f32_i4_sdwa v46, v44 dst_sel:DWORD dst_unused:UNUSED_PRESERVE src0_sel:BYTE_3// 0000000074D8: 7E5C1CF9 0003162C
	v_cvt_pk_fp8_f32 v49, v45, v46                             // 0000000074E0: D2A20031 00025D2D
	v_lshrrev_b32_e32 v47, 4, v44                              // 0000000074E8: 205E5884
	v_cvt_off_f32_i4_e32 v45, v47                              // 0000000074EC: 7E5A1D2F
	v_cvt_off_f32_i4_sdwa v46, v47 dst_sel:DWORD dst_unused:UNUSED_PRESERVE src0_sel:BYTE_2// 0000000074F0: 7E5C1CF9 0002162F
	v_cvt_pk_fp8_f32 v48, v45, v46 op_sel:[0,0,1]              // 0000000074F8: D2A24030 00025D2D
	v_cvt_off_f32_i4_sdwa v45, v47 dst_sel:DWORD dst_unused:UNUSED_PRESERVE src0_sel:BYTE_1// 000000007500: 7E5A1CF9 0001162F
	v_cvt_off_f32_i4_sdwa v46, v47 dst_sel:DWORD dst_unused:UNUSED_PRESERVE src0_sel:BYTE_3// 000000007508: 7E5C1CF9 0003162F
	v_cvt_pk_fp8_f32 v49, v45, v46 op_sel:[0,0,1]              // 000000007510: D2A24031 00025D2D
	v_accvgpr_write_b32 a40, v48                               // 000000007518: D3D94028 18000130
	v_accvgpr_write_b32 a41, v49                               // 000000007520: D3D94029 18000131
	s_nop 3                                                    // 000000007528: BF800003
	v_mfma_f32_16x16x32_fp8_fp8 v[184:187], a[40:41], v[128:129], 0// 00000000752C: D3F300B8 0A030128
	v_accvgpr_read_b32 v44, a53                                // 000000007534: D3D8402C 18000135
	v_cvt_off_f32_i4_e32 v45, v44                              // 00000000753C: 7E5A1D2C
	v_cvt_off_f32_i4_sdwa v46, v44 dst_sel:DWORD dst_unused:UNUSED_PRESERVE src0_sel:BYTE_2// 000000007540: 7E5C1CF9 0002162C
	v_cvt_pk_fp8_f32 v48, v45, v46                             // 000000007548: D2A20030 00025D2D
	v_cvt_off_f32_i4_sdwa v45, v44 dst_sel:DWORD dst_unused:UNUSED_PRESERVE src0_sel:BYTE_1// 000000007550: 7E5A1CF9 0001162C
	v_cvt_off_f32_i4_sdwa v46, v44 dst_sel:DWORD dst_unused:UNUSED_PRESERVE src0_sel:BYTE_3// 000000007558: 7E5C1CF9 0003162C
	v_cvt_pk_fp8_f32 v49, v45, v46                             // 000000007560: D2A20031 00025D2D
	v_lshrrev_b32_e32 v47, 4, v44                              // 000000007568: 205E5884
	v_cvt_off_f32_i4_e32 v45, v47                              // 00000000756C: 7E5A1D2F
	v_cvt_off_f32_i4_sdwa v46, v47 dst_sel:DWORD dst_unused:UNUSED_PRESERVE src0_sel:BYTE_2// 000000007570: 7E5C1CF9 0002162F
	v_cvt_pk_fp8_f32 v48, v45, v46 op_sel:[0,0,1]              // 000000007578: D2A24030 00025D2D
	v_cvt_off_f32_i4_sdwa v45, v47 dst_sel:DWORD dst_unused:UNUSED_PRESERVE src0_sel:BYTE_1// 000000007580: 7E5A1CF9 0001162F
	v_cvt_off_f32_i4_sdwa v46, v47 dst_sel:DWORD dst_unused:UNUSED_PRESERVE src0_sel:BYTE_3// 000000007588: 7E5C1CF9 0003162F
	v_cvt_pk_fp8_f32 v49, v45, v46 op_sel:[0,0,1]              // 000000007590: D2A24031 00025D2D
	v_accvgpr_write_b32 a42, v48                               // 000000007598: D3D9402A 18000130
	v_accvgpr_write_b32 a43, v49                               // 0000000075A0: D3D9402B 18000131
	s_nop 3                                                    // 0000000075A8: BF800003
	v_mfma_f32_16x16x32_fp8_fp8 v[184:187], a[42:43], v[130:131], v[184:187]// 0000000075AC: D3F300B8 0EE3052A
	buffer_load_dwordx4 a[20:23], v35, s[12:15], 0 offen       // 0000000075B4: E05C1000 80831423
	v_accvgpr_read_b32 v44, a54                                // 0000000075BC: D3D8402C 18000136
	v_cvt_off_f32_i4_e32 v45, v44                              // 0000000075C4: 7E5A1D2C
	v_cvt_off_f32_i4_sdwa v46, v44 dst_sel:DWORD dst_unused:UNUSED_PRESERVE src0_sel:BYTE_2// 0000000075C8: 7E5C1CF9 0002162C
	v_cvt_pk_fp8_f32 v48, v45, v46                             // 0000000075D0: D2A20030 00025D2D
	v_cvt_off_f32_i4_sdwa v45, v44 dst_sel:DWORD dst_unused:UNUSED_PRESERVE src0_sel:BYTE_1// 0000000075D8: 7E5A1CF9 0001162C
	v_cvt_off_f32_i4_sdwa v46, v44 dst_sel:DWORD dst_unused:UNUSED_PRESERVE src0_sel:BYTE_3// 0000000075E0: 7E5C1CF9 0003162C
	v_cvt_pk_fp8_f32 v49, v45, v46                             // 0000000075E8: D2A20031 00025D2D
	v_lshrrev_b32_e32 v47, 4, v44                              // 0000000075F0: 205E5884
	v_cvt_off_f32_i4_e32 v45, v47                              // 0000000075F4: 7E5A1D2F
	v_cvt_off_f32_i4_sdwa v46, v47 dst_sel:DWORD dst_unused:UNUSED_PRESERVE src0_sel:BYTE_2// 0000000075F8: 7E5C1CF9 0002162F
	v_cvt_pk_fp8_f32 v48, v45, v46 op_sel:[0,0,1]              // 000000007600: D2A24030 00025D2D
	v_cvt_off_f32_i4_sdwa v45, v47 dst_sel:DWORD dst_unused:UNUSED_PRESERVE src0_sel:BYTE_1// 000000007608: 7E5A1CF9 0001162F
	v_cvt_off_f32_i4_sdwa v46, v47 dst_sel:DWORD dst_unused:UNUSED_PRESERVE src0_sel:BYTE_3// 000000007610: 7E5C1CF9 0003162F
	v_cvt_pk_fp8_f32 v49, v45, v46 op_sel:[0,0,1]              // 000000007618: D2A24031 00025D2D
	v_accvgpr_write_b32 a44, v48                               // 000000007620: D3D9402C 18000130
	v_accvgpr_write_b32 a45, v49                               // 000000007628: D3D9402D 18000131
	s_nop 3                                                    // 000000007630: BF800003
	v_mfma_f32_16x16x32_fp8_fp8 v[184:187], a[44:45], v[132:133], v[184:187]// 000000007634: D3F300B8 0EE3092C
	v_accvgpr_read_b32 v44, a55                                // 00000000763C: D3D8402C 18000137
	v_cvt_off_f32_i4_e32 v45, v44                              // 000000007644: 7E5A1D2C
	v_cvt_off_f32_i4_sdwa v46, v44 dst_sel:DWORD dst_unused:UNUSED_PRESERVE src0_sel:BYTE_2// 000000007648: 7E5C1CF9 0002162C
	v_cvt_pk_fp8_f32 v48, v45, v46                             // 000000007650: D2A20030 00025D2D
	v_cvt_off_f32_i4_sdwa v45, v44 dst_sel:DWORD dst_unused:UNUSED_PRESERVE src0_sel:BYTE_1// 000000007658: 7E5A1CF9 0001162C
	v_cvt_off_f32_i4_sdwa v46, v44 dst_sel:DWORD dst_unused:UNUSED_PRESERVE src0_sel:BYTE_3// 000000007660: 7E5C1CF9 0003162C
	v_cvt_pk_fp8_f32 v49, v45, v46                             // 000000007668: D2A20031 00025D2D
	v_lshrrev_b32_e32 v47, 4, v44                              // 000000007670: 205E5884
	v_cvt_off_f32_i4_e32 v45, v47                              // 000000007674: 7E5A1D2F
	v_cvt_off_f32_i4_sdwa v46, v47 dst_sel:DWORD dst_unused:UNUSED_PRESERVE src0_sel:BYTE_2// 000000007678: 7E5C1CF9 0002162F
	v_cvt_pk_fp8_f32 v48, v45, v46 op_sel:[0,0,1]              // 000000007680: D2A24030 00025D2D
	v_cvt_off_f32_i4_sdwa v45, v47 dst_sel:DWORD dst_unused:UNUSED_PRESERVE src0_sel:BYTE_1// 000000007688: 7E5A1CF9 0001162F
	v_cvt_off_f32_i4_sdwa v46, v47 dst_sel:DWORD dst_unused:UNUSED_PRESERVE src0_sel:BYTE_3// 000000007690: 7E5C1CF9 0003162F
	v_cvt_pk_fp8_f32 v49, v45, v46 op_sel:[0,0,1]              // 000000007698: D2A24031 00025D2D
	v_accvgpr_write_b32 a46, v48                               // 0000000076A0: D3D9402E 18000130
	v_accvgpr_write_b32 a47, v49                               // 0000000076A8: D3D9402F 18000131
	s_nop 3                                                    // 0000000076B0: BF800003
	v_mfma_f32_16x16x32_fp8_fp8 v[184:187], a[46:47], v[134:135], v[184:187]// 0000000076B4: D3F300B8 0EE30D2E
	v_mfma_f32_16x16x32_fp8_fp8 v[188:191], a[40:41], v[136:137], 0// 0000000076BC: D3F300BC 0A031128
	v_mfma_f32_16x16x32_fp8_fp8 v[188:191], a[42:43], v[138:139], v[188:191]// 0000000076C4: D3F300BC 0EF3152A
	v_mfma_f32_16x16x32_fp8_fp8 v[188:191], a[44:45], v[140:141], v[188:191]// 0000000076CC: D3F300BC 0EF3192C
	v_mfma_f32_16x16x32_fp8_fp8 v[188:191], a[46:47], v[142:143], v[188:191]// 0000000076D4: D3F300BC 0EF31D2E
	v_accvgpr_read_b32 v44, a56                                // 0000000076DC: D3D8402C 18000138
	v_cvt_off_f32_i4_e32 v45, v44                              // 0000000076E4: 7E5A1D2C
	v_cvt_off_f32_i4_sdwa v46, v44 dst_sel:DWORD dst_unused:UNUSED_PRESERVE src0_sel:BYTE_2// 0000000076E8: 7E5C1CF9 0002162C
	v_cvt_pk_fp8_f32 v48, v45, v46                             // 0000000076F0: D2A20030 00025D2D
	v_cvt_off_f32_i4_sdwa v45, v44 dst_sel:DWORD dst_unused:UNUSED_PRESERVE src0_sel:BYTE_1// 0000000076F8: 7E5A1CF9 0001162C
	v_cvt_off_f32_i4_sdwa v46, v44 dst_sel:DWORD dst_unused:UNUSED_PRESERVE src0_sel:BYTE_3// 000000007700: 7E5C1CF9 0003162C
	v_cvt_pk_fp8_f32 v49, v45, v46                             // 000000007708: D2A20031 00025D2D
	v_lshrrev_b32_e32 v47, 4, v44                              // 000000007710: 205E5884
	v_cvt_off_f32_i4_e32 v45, v47                              // 000000007714: 7E5A1D2F
	v_cvt_off_f32_i4_sdwa v46, v47 dst_sel:DWORD dst_unused:UNUSED_PRESERVE src0_sel:BYTE_2// 000000007718: 7E5C1CF9 0002162F
	v_cvt_pk_fp8_f32 v48, v45, v46 op_sel:[0,0,1]              // 000000007720: D2A24030 00025D2D
	v_cvt_off_f32_i4_sdwa v45, v47 dst_sel:DWORD dst_unused:UNUSED_PRESERVE src0_sel:BYTE_1// 000000007728: 7E5A1CF9 0001162F
	v_cvt_off_f32_i4_sdwa v46, v47 dst_sel:DWORD dst_unused:UNUSED_PRESERVE src0_sel:BYTE_3// 000000007730: 7E5C1CF9 0003162F
	v_cvt_pk_fp8_f32 v49, v45, v46 op_sel:[0,0,1]              // 000000007738: D2A24031 00025D2D
	v_accvgpr_write_b32 a48, v48                               // 000000007740: D3D94030 18000130
	v_accvgpr_write_b32 a49, v49                               // 000000007748: D3D94031 18000131
	s_nop 3                                                    // 000000007750: BF800003
	v_mfma_f32_16x16x32_fp8_fp8 v[192:195], a[48:49], v[128:129], 0// 000000007754: D3F300C0 0A030130
	v_accvgpr_read_b32 v44, a57                                // 00000000775C: D3D8402C 18000139
	v_cvt_off_f32_i4_e32 v45, v44                              // 000000007764: 7E5A1D2C
	v_cvt_off_f32_i4_sdwa v46, v44 dst_sel:DWORD dst_unused:UNUSED_PRESERVE src0_sel:BYTE_2// 000000007768: 7E5C1CF9 0002162C
	v_cvt_pk_fp8_f32 v48, v45, v46                             // 000000007770: D2A20030 00025D2D
	v_cvt_off_f32_i4_sdwa v45, v44 dst_sel:DWORD dst_unused:UNUSED_PRESERVE src0_sel:BYTE_1// 000000007778: 7E5A1CF9 0001162C
	v_cvt_off_f32_i4_sdwa v46, v44 dst_sel:DWORD dst_unused:UNUSED_PRESERVE src0_sel:BYTE_3// 000000007780: 7E5C1CF9 0003162C
	v_cvt_pk_fp8_f32 v49, v45, v46                             // 000000007788: D2A20031 00025D2D
	v_lshrrev_b32_e32 v47, 4, v44                              // 000000007790: 205E5884
	v_cvt_off_f32_i4_e32 v45, v47                              // 000000007794: 7E5A1D2F
	v_cvt_off_f32_i4_sdwa v46, v47 dst_sel:DWORD dst_unused:UNUSED_PRESERVE src0_sel:BYTE_2// 000000007798: 7E5C1CF9 0002162F
	v_cvt_pk_fp8_f32 v48, v45, v46 op_sel:[0,0,1]              // 0000000077A0: D2A24030 00025D2D
	v_cvt_off_f32_i4_sdwa v45, v47 dst_sel:DWORD dst_unused:UNUSED_PRESERVE src0_sel:BYTE_1// 0000000077A8: 7E5A1CF9 0001162F
	v_cvt_off_f32_i4_sdwa v46, v47 dst_sel:DWORD dst_unused:UNUSED_PRESERVE src0_sel:BYTE_3// 0000000077B0: 7E5C1CF9 0003162F
	v_cvt_pk_fp8_f32 v49, v45, v46 op_sel:[0,0,1]              // 0000000077B8: D2A24031 00025D2D
	v_accvgpr_write_b32 a50, v48                               // 0000000077C0: D3D94032 18000130
	v_accvgpr_write_b32 a51, v49                               // 0000000077C8: D3D94033 18000131
	s_nop 3                                                    // 0000000077D0: BF800003
	v_mfma_f32_16x16x32_fp8_fp8 v[192:195], a[50:51], v[130:131], v[192:195]// 0000000077D4: D3F300C0 0F030532
	buffer_load_dwordx4 a[24:27], v36, s[12:15], 0 offen       // 0000000077DC: E05C1000 80831824
	v_accvgpr_read_b32 v44, a58                                // 0000000077E4: D3D8402C 1800013A
	v_cvt_off_f32_i4_e32 v45, v44                              // 0000000077EC: 7E5A1D2C
	v_cvt_off_f32_i4_sdwa v46, v44 dst_sel:DWORD dst_unused:UNUSED_PRESERVE src0_sel:BYTE_2// 0000000077F0: 7E5C1CF9 0002162C
	v_cvt_pk_fp8_f32 v48, v45, v46                             // 0000000077F8: D2A20030 00025D2D
	v_cvt_off_f32_i4_sdwa v45, v44 dst_sel:DWORD dst_unused:UNUSED_PRESERVE src0_sel:BYTE_1// 000000007800: 7E5A1CF9 0001162C
	v_cvt_off_f32_i4_sdwa v46, v44 dst_sel:DWORD dst_unused:UNUSED_PRESERVE src0_sel:BYTE_3// 000000007808: 7E5C1CF9 0003162C
	v_cvt_pk_fp8_f32 v49, v45, v46                             // 000000007810: D2A20031 00025D2D
	v_lshrrev_b32_e32 v47, 4, v44                              // 000000007818: 205E5884
	v_cvt_off_f32_i4_e32 v45, v47                              // 00000000781C: 7E5A1D2F
	v_cvt_off_f32_i4_sdwa v46, v47 dst_sel:DWORD dst_unused:UNUSED_PRESERVE src0_sel:BYTE_2// 000000007820: 7E5C1CF9 0002162F
	v_cvt_pk_fp8_f32 v48, v45, v46 op_sel:[0,0,1]              // 000000007828: D2A24030 00025D2D
	v_cvt_off_f32_i4_sdwa v45, v47 dst_sel:DWORD dst_unused:UNUSED_PRESERVE src0_sel:BYTE_1// 000000007830: 7E5A1CF9 0001162F
	v_cvt_off_f32_i4_sdwa v46, v47 dst_sel:DWORD dst_unused:UNUSED_PRESERVE src0_sel:BYTE_3// 000000007838: 7E5C1CF9 0003162F
	v_cvt_pk_fp8_f32 v49, v45, v46 op_sel:[0,0,1]              // 000000007840: D2A24031 00025D2D
	v_accvgpr_write_b32 a52, v48                               // 000000007848: D3D94034 18000130
	v_accvgpr_write_b32 a53, v49                               // 000000007850: D3D94035 18000131
	s_nop 3                                                    // 000000007858: BF800003
	v_mfma_f32_16x16x32_fp8_fp8 v[192:195], a[52:53], v[132:133], v[192:195]// 00000000785C: D3F300C0 0F030934
	v_accvgpr_read_b32 v44, a59                                // 000000007864: D3D8402C 1800013B
	v_cvt_off_f32_i4_e32 v45, v44                              // 00000000786C: 7E5A1D2C
	v_cvt_off_f32_i4_sdwa v46, v44 dst_sel:DWORD dst_unused:UNUSED_PRESERVE src0_sel:BYTE_2// 000000007870: 7E5C1CF9 0002162C
	v_cvt_pk_fp8_f32 v48, v45, v46                             // 000000007878: D2A20030 00025D2D
	v_cvt_off_f32_i4_sdwa v45, v44 dst_sel:DWORD dst_unused:UNUSED_PRESERVE src0_sel:BYTE_1// 000000007880: 7E5A1CF9 0001162C
	v_cvt_off_f32_i4_sdwa v46, v44 dst_sel:DWORD dst_unused:UNUSED_PRESERVE src0_sel:BYTE_3// 000000007888: 7E5C1CF9 0003162C
	v_cvt_pk_fp8_f32 v49, v45, v46                             // 000000007890: D2A20031 00025D2D
	v_lshrrev_b32_e32 v47, 4, v44                              // 000000007898: 205E5884
	v_cvt_off_f32_i4_e32 v45, v47                              // 00000000789C: 7E5A1D2F
	v_cvt_off_f32_i4_sdwa v46, v47 dst_sel:DWORD dst_unused:UNUSED_PRESERVE src0_sel:BYTE_2// 0000000078A0: 7E5C1CF9 0002162F
	v_cvt_pk_fp8_f32 v48, v45, v46 op_sel:[0,0,1]              // 0000000078A8: D2A24030 00025D2D
	v_cvt_off_f32_i4_sdwa v45, v47 dst_sel:DWORD dst_unused:UNUSED_PRESERVE src0_sel:BYTE_1// 0000000078B0: 7E5A1CF9 0001162F
	v_cvt_off_f32_i4_sdwa v46, v47 dst_sel:DWORD dst_unused:UNUSED_PRESERVE src0_sel:BYTE_3// 0000000078B8: 7E5C1CF9 0003162F
	v_cvt_pk_fp8_f32 v49, v45, v46 op_sel:[0,0,1]              // 0000000078C0: D2A24031 00025D2D
	v_accvgpr_write_b32 a54, v48                               // 0000000078C8: D3D94036 18000130
	v_accvgpr_write_b32 a55, v49                               // 0000000078D0: D3D94037 18000131
	s_nop 3                                                    // 0000000078D8: BF800003
	v_mfma_f32_16x16x32_fp8_fp8 v[192:195], a[54:55], v[134:135], v[192:195]// 0000000078DC: D3F300C0 0F030D36
	v_mfma_f32_16x16x32_fp8_fp8 v[196:199], a[48:49], v[136:137], 0// 0000000078E4: D3F300C4 0A031130
	v_mfma_f32_16x16x32_fp8_fp8 v[196:199], a[50:51], v[138:139], v[196:199]// 0000000078EC: D3F300C4 0F131532
	v_mfma_f32_16x16x32_fp8_fp8 v[196:199], a[52:53], v[140:141], v[196:199]// 0000000078F4: D3F300C4 0F131934
	v_mfma_f32_16x16x32_fp8_fp8 v[196:199], a[54:55], v[142:143], v[196:199]// 0000000078FC: D3F300C4 0F131D36
	v_accvgpr_read_b32 v44, a60                                // 000000007904: D3D8402C 1800013C
	v_cvt_off_f32_i4_e32 v45, v44                              // 00000000790C: 7E5A1D2C
	v_cvt_off_f32_i4_sdwa v46, v44 dst_sel:DWORD dst_unused:UNUSED_PRESERVE src0_sel:BYTE_2// 000000007910: 7E5C1CF9 0002162C
	v_cvt_pk_fp8_f32 v48, v45, v46                             // 000000007918: D2A20030 00025D2D
	v_cvt_off_f32_i4_sdwa v45, v44 dst_sel:DWORD dst_unused:UNUSED_PRESERVE src0_sel:BYTE_1// 000000007920: 7E5A1CF9 0001162C
	v_cvt_off_f32_i4_sdwa v46, v44 dst_sel:DWORD dst_unused:UNUSED_PRESERVE src0_sel:BYTE_3// 000000007928: 7E5C1CF9 0003162C
	v_cvt_pk_fp8_f32 v49, v45, v46                             // 000000007930: D2A20031 00025D2D
	v_lshrrev_b32_e32 v47, 4, v44                              // 000000007938: 205E5884
	v_cvt_off_f32_i4_e32 v45, v47                              // 00000000793C: 7E5A1D2F
	v_cvt_off_f32_i4_sdwa v46, v47 dst_sel:DWORD dst_unused:UNUSED_PRESERVE src0_sel:BYTE_2// 000000007940: 7E5C1CF9 0002162F
	v_cvt_pk_fp8_f32 v48, v45, v46 op_sel:[0,0,1]              // 000000007948: D2A24030 00025D2D
	v_cvt_off_f32_i4_sdwa v45, v47 dst_sel:DWORD dst_unused:UNUSED_PRESERVE src0_sel:BYTE_1// 000000007950: 7E5A1CF9 0001162F
	v_cvt_off_f32_i4_sdwa v46, v47 dst_sel:DWORD dst_unused:UNUSED_PRESERVE src0_sel:BYTE_3// 000000007958: 7E5C1CF9 0003162F
	v_cvt_pk_fp8_f32 v49, v45, v46 op_sel:[0,0,1]              // 000000007960: D2A24031 00025D2D
	v_accvgpr_write_b32 a56, v48                               // 000000007968: D3D94038 18000130
	v_accvgpr_write_b32 a57, v49                               // 000000007970: D3D94039 18000131
	s_nop 3                                                    // 000000007978: BF800003
	v_mfma_f32_16x16x32_fp8_fp8 v[200:203], a[56:57], v[128:129], 0// 00000000797C: D3F300C8 0A030138
	v_accvgpr_read_b32 v44, a61                                // 000000007984: D3D8402C 1800013D
	v_cvt_off_f32_i4_e32 v45, v44                              // 00000000798C: 7E5A1D2C
	v_cvt_off_f32_i4_sdwa v46, v44 dst_sel:DWORD dst_unused:UNUSED_PRESERVE src0_sel:BYTE_2// 000000007990: 7E5C1CF9 0002162C
	v_cvt_pk_fp8_f32 v48, v45, v46                             // 000000007998: D2A20030 00025D2D
	v_cvt_off_f32_i4_sdwa v45, v44 dst_sel:DWORD dst_unused:UNUSED_PRESERVE src0_sel:BYTE_1// 0000000079A0: 7E5A1CF9 0001162C
	v_cvt_off_f32_i4_sdwa v46, v44 dst_sel:DWORD dst_unused:UNUSED_PRESERVE src0_sel:BYTE_3// 0000000079A8: 7E5C1CF9 0003162C
	v_cvt_pk_fp8_f32 v49, v45, v46                             // 0000000079B0: D2A20031 00025D2D
	v_lshrrev_b32_e32 v47, 4, v44                              // 0000000079B8: 205E5884
	v_cvt_off_f32_i4_e32 v45, v47                              // 0000000079BC: 7E5A1D2F
	v_cvt_off_f32_i4_sdwa v46, v47 dst_sel:DWORD dst_unused:UNUSED_PRESERVE src0_sel:BYTE_2// 0000000079C0: 7E5C1CF9 0002162F
	v_cvt_pk_fp8_f32 v48, v45, v46 op_sel:[0,0,1]              // 0000000079C8: D2A24030 00025D2D
	v_cvt_off_f32_i4_sdwa v45, v47 dst_sel:DWORD dst_unused:UNUSED_PRESERVE src0_sel:BYTE_1// 0000000079D0: 7E5A1CF9 0001162F
	v_cvt_off_f32_i4_sdwa v46, v47 dst_sel:DWORD dst_unused:UNUSED_PRESERVE src0_sel:BYTE_3// 0000000079D8: 7E5C1CF9 0003162F
	v_cvt_pk_fp8_f32 v49, v45, v46 op_sel:[0,0,1]              // 0000000079E0: D2A24031 00025D2D
	v_accvgpr_write_b32 a58, v48                               // 0000000079E8: D3D9403A 18000130
	v_accvgpr_write_b32 a59, v49                               // 0000000079F0: D3D9403B 18000131
	s_nop 3                                                    // 0000000079F8: BF800003
	v_mfma_f32_16x16x32_fp8_fp8 v[200:203], a[58:59], v[130:131], v[200:203]// 0000000079FC: D3F300C8 0F23053A
	buffer_load_dwordx4 a[28:31], v37, s[12:15], 0 offen       // 000000007A04: E05C1000 80831C25
	v_accvgpr_read_b32 v44, a62                                // 000000007A0C: D3D8402C 1800013E
	v_cvt_off_f32_i4_e32 v45, v44                              // 000000007A14: 7E5A1D2C
	v_cvt_off_f32_i4_sdwa v46, v44 dst_sel:DWORD dst_unused:UNUSED_PRESERVE src0_sel:BYTE_2// 000000007A18: 7E5C1CF9 0002162C
	v_cvt_pk_fp8_f32 v48, v45, v46                             // 000000007A20: D2A20030 00025D2D
	v_cvt_off_f32_i4_sdwa v45, v44 dst_sel:DWORD dst_unused:UNUSED_PRESERVE src0_sel:BYTE_1// 000000007A28: 7E5A1CF9 0001162C
	v_cvt_off_f32_i4_sdwa v46, v44 dst_sel:DWORD dst_unused:UNUSED_PRESERVE src0_sel:BYTE_3// 000000007A30: 7E5C1CF9 0003162C
	v_cvt_pk_fp8_f32 v49, v45, v46                             // 000000007A38: D2A20031 00025D2D
	v_lshrrev_b32_e32 v47, 4, v44                              // 000000007A40: 205E5884
	v_cvt_off_f32_i4_e32 v45, v47                              // 000000007A44: 7E5A1D2F
	v_cvt_off_f32_i4_sdwa v46, v47 dst_sel:DWORD dst_unused:UNUSED_PRESERVE src0_sel:BYTE_2// 000000007A48: 7E5C1CF9 0002162F
	v_cvt_pk_fp8_f32 v48, v45, v46 op_sel:[0,0,1]              // 000000007A50: D2A24030 00025D2D
	v_cvt_off_f32_i4_sdwa v45, v47 dst_sel:DWORD dst_unused:UNUSED_PRESERVE src0_sel:BYTE_1// 000000007A58: 7E5A1CF9 0001162F
	v_cvt_off_f32_i4_sdwa v46, v47 dst_sel:DWORD dst_unused:UNUSED_PRESERVE src0_sel:BYTE_3// 000000007A60: 7E5C1CF9 0003162F
	v_cvt_pk_fp8_f32 v49, v45, v46 op_sel:[0,0,1]              // 000000007A68: D2A24031 00025D2D
	v_accvgpr_write_b32 a60, v48                               // 000000007A70: D3D9403C 18000130
	v_accvgpr_write_b32 a61, v49                               // 000000007A78: D3D9403D 18000131
	s_nop 3                                                    // 000000007A80: BF800003
	v_mfma_f32_16x16x32_fp8_fp8 v[200:203], a[60:61], v[132:133], v[200:203]// 000000007A84: D3F300C8 0F23093C
	v_accvgpr_read_b32 v44, a63                                // 000000007A8C: D3D8402C 1800013F
	v_cvt_off_f32_i4_e32 v45, v44                              // 000000007A94: 7E5A1D2C
	v_cvt_off_f32_i4_sdwa v46, v44 dst_sel:DWORD dst_unused:UNUSED_PRESERVE src0_sel:BYTE_2// 000000007A98: 7E5C1CF9 0002162C
	v_cvt_pk_fp8_f32 v48, v45, v46                             // 000000007AA0: D2A20030 00025D2D
	v_cvt_off_f32_i4_sdwa v45, v44 dst_sel:DWORD dst_unused:UNUSED_PRESERVE src0_sel:BYTE_1// 000000007AA8: 7E5A1CF9 0001162C
	v_cvt_off_f32_i4_sdwa v46, v44 dst_sel:DWORD dst_unused:UNUSED_PRESERVE src0_sel:BYTE_3// 000000007AB0: 7E5C1CF9 0003162C
	v_cvt_pk_fp8_f32 v49, v45, v46                             // 000000007AB8: D2A20031 00025D2D
	v_lshrrev_b32_e32 v47, 4, v44                              // 000000007AC0: 205E5884
	v_cvt_off_f32_i4_e32 v45, v47                              // 000000007AC4: 7E5A1D2F
	v_cvt_off_f32_i4_sdwa v46, v47 dst_sel:DWORD dst_unused:UNUSED_PRESERVE src0_sel:BYTE_2// 000000007AC8: 7E5C1CF9 0002162F
	v_cvt_pk_fp8_f32 v48, v45, v46 op_sel:[0,0,1]              // 000000007AD0: D2A24030 00025D2D
	v_cvt_off_f32_i4_sdwa v45, v47 dst_sel:DWORD dst_unused:UNUSED_PRESERVE src0_sel:BYTE_1// 000000007AD8: 7E5A1CF9 0001162F
	v_cvt_off_f32_i4_sdwa v46, v47 dst_sel:DWORD dst_unused:UNUSED_PRESERVE src0_sel:BYTE_3// 000000007AE0: 7E5C1CF9 0003162F
	v_cvt_pk_fp8_f32 v49, v45, v46 op_sel:[0,0,1]              // 000000007AE8: D2A24031 00025D2D
	v_accvgpr_write_b32 a62, v48                               // 000000007AF0: D3D9403E 18000130
	v_accvgpr_write_b32 a63, v49                               // 000000007AF8: D3D9403F 18000131
	s_nop 3                                                    // 000000007B00: BF800003
	v_mfma_f32_16x16x32_fp8_fp8 v[200:203], a[62:63], v[134:135], v[200:203]// 000000007B04: D3F300C8 0F230D3E
	v_mfma_f32_16x16x32_fp8_fp8 v[204:207], a[56:57], v[136:137], 0// 000000007B0C: D3F300CC 0A031138
	v_mfma_f32_16x16x32_fp8_fp8 v[204:207], a[58:59], v[138:139], v[204:207]// 000000007B14: D3F300CC 0F33153A
	v_mfma_f32_16x16x32_fp8_fp8 v[204:207], a[60:61], v[140:141], v[204:207]// 000000007B1C: D3F300CC 0F33193C
	v_mfma_f32_16x16x32_fp8_fp8 v[204:207], a[62:63], v[142:143], v[204:207]// 000000007B24: D3F300CC 0F331D3E
	s_add_u32 s60, 0x200, s80                                  // 000000007B2C: 803C50FF 00000200
	s_cmp_lt_u32 s60, s81                                      // 000000007B34: BF0A513C
	s_cselect_b32 s56, s56, 0                                  // 000000007B38: 85388038
	s_cselect_b32 s78, s78, 0                                  // 000000007B3C: 854E804E
	s_cselect_b32 s79, s79, 0                                  // 000000007B40: 854F804F
	s_add_u32 s12, s56, s12                                    // 000000007B44: 800C0C38
	s_addc_u32 s13, 0, s13                                     // 000000007B48: 820D0D80
	s_add_u32 s16, s79, s16                                    // 000000007B4C: 8010104F
	s_addc_u32 s17, 0, s17                                     // 000000007B50: 82111180
	v_mul_f32_e32 v176, v22, v176                              // 000000007B54: 0B616116
	v_mul_f32_e32 v176, 0x41800000, v176                       // 000000007B58: 0B6160FF 41800000
	v_mul_f32_e32 v177, v22, v177                              // 000000007B60: 0B636316
	v_mul_f32_e32 v177, 0x41800000, v177                       // 000000007B64: 0B6362FF 41800000
	v_mul_f32_e32 v178, v22, v178                              // 000000007B6C: 0B656516
	v_mul_f32_e32 v178, 0x41800000, v178                       // 000000007B70: 0B6564FF 41800000
	v_mul_f32_e32 v179, v22, v179                              // 000000007B78: 0B676716
	v_mul_f32_e32 v179, 0x41800000, v179                       // 000000007B7C: 0B6766FF 41800000
	v_mul_f32_dpp v176, v12, v176 row_newbcast:0 row_mask:0xf bank_mask:0xf// 000000007B84: 0B6160FA FF01500C
	v_mul_f32_dpp v177, v12, v177 row_newbcast:1 row_mask:0xf bank_mask:0xf// 000000007B8C: 0B6362FA FF01510C
	v_mul_f32_dpp v178, v12, v178 row_newbcast:2 row_mask:0xf bank_mask:0xf// 000000007B94: 0B6564FA FF01520C
	v_mul_f32_dpp v179, v12, v179 row_newbcast:3 row_mask:0xf bank_mask:0xf// 000000007B9C: 0B6766FA FF01530C
	v_mul_f32_e32 v176, v17, v176                              // 000000007BA4: 0B616111
	v_mul_f32_e32 v177, v17, v177                              // 000000007BA8: 0B636311
	v_mul_f32_e32 v178, v17, v178                              // 000000007BAC: 0B656511
	v_mul_f32_e32 v179, v17, v179                              // 000000007BB0: 0B676711
	v_mul_f32_e32 v180, v23, v180                              // 000000007BB4: 0B696917
	v_mul_f32_e32 v180, 0x41800000, v180                       // 000000007BB8: 0B6968FF 41800000
	v_mul_f32_e32 v181, v23, v181                              // 000000007BC0: 0B6B6B17
	v_mul_f32_e32 v181, 0x41800000, v181                       // 000000007BC4: 0B6B6AFF 41800000
	v_mul_f32_e32 v182, v23, v182                              // 000000007BCC: 0B6D6D17
	v_mul_f32_e32 v182, 0x41800000, v182                       // 000000007BD0: 0B6D6CFF 41800000
	v_mul_f32_e32 v183, v23, v183                              // 000000007BD8: 0B6F6F17
	v_mul_f32_e32 v183, 0x41800000, v183                       // 000000007BDC: 0B6F6EFF 41800000
	v_mul_f32_dpp v180, v12, v180 row_newbcast:0 row_mask:0xf bank_mask:0xf// 000000007BE4: 0B6968FA FF01500C
	v_mul_f32_dpp v181, v12, v181 row_newbcast:1 row_mask:0xf bank_mask:0xf// 000000007BEC: 0B6B6AFA FF01510C
	v_mul_f32_dpp v182, v12, v182 row_newbcast:2 row_mask:0xf bank_mask:0xf// 000000007BF4: 0B6D6CFA FF01520C
	v_mul_f32_dpp v183, v12, v183 row_newbcast:3 row_mask:0xf bank_mask:0xf// 000000007BFC: 0B6F6EFA FF01530C
	v_mul_f32_e32 v180, v18, v180                              // 000000007C04: 0B696912
	v_mul_f32_e32 v181, v18, v181                              // 000000007C08: 0B6B6B12
	v_mul_f32_e32 v182, v18, v182                              // 000000007C0C: 0B6D6D12
	v_mul_f32_e32 v183, v18, v183                              // 000000007C10: 0B6F6F12
	v_mul_f32_e32 v184, v22, v184                              // 000000007C14: 0B717116
	v_mul_f32_e32 v184, 0x41800000, v184                       // 000000007C18: 0B7170FF 41800000
	v_mul_f32_e32 v185, v22, v185                              // 000000007C20: 0B737316
	v_mul_f32_e32 v185, 0x41800000, v185                       // 000000007C24: 0B7372FF 41800000
	v_mul_f32_e32 v186, v22, v186                              // 000000007C2C: 0B757516
	v_mul_f32_e32 v186, 0x41800000, v186                       // 000000007C30: 0B7574FF 41800000
	v_mul_f32_e32 v187, v22, v187                              // 000000007C38: 0B777716
	v_mul_f32_e32 v187, 0x41800000, v187                       // 000000007C3C: 0B7776FF 41800000
	v_mul_f32_dpp v184, v12, v184 row_newbcast:4 row_mask:0xf bank_mask:0xf// 000000007C44: 0B7170FA FF01540C
	v_mul_f32_dpp v185, v12, v185 row_newbcast:5 row_mask:0xf bank_mask:0xf// 000000007C4C: 0B7372FA FF01550C
	v_mul_f32_dpp v186, v12, v186 row_newbcast:6 row_mask:0xf bank_mask:0xf// 000000007C54: 0B7574FA FF01560C
	v_mul_f32_dpp v187, v12, v187 row_newbcast:7 row_mask:0xf bank_mask:0xf// 000000007C5C: 0B7776FA FF01570C
	v_mul_f32_e32 v184, v17, v184                              // 000000007C64: 0B717111
	v_mul_f32_e32 v185, v17, v185                              // 000000007C68: 0B737311
	v_mul_f32_e32 v186, v17, v186                              // 000000007C6C: 0B757511
	v_mul_f32_e32 v187, v17, v187                              // 000000007C70: 0B777711
	v_mul_f32_e32 v188, v23, v188                              // 000000007C74: 0B797917
	v_mul_f32_e32 v188, 0x41800000, v188                       // 000000007C78: 0B7978FF 41800000
	v_mul_f32_e32 v189, v23, v189                              // 000000007C80: 0B7B7B17
	v_mul_f32_e32 v189, 0x41800000, v189                       // 000000007C84: 0B7B7AFF 41800000
	v_mul_f32_e32 v190, v23, v190                              // 000000007C8C: 0B7D7D17
	v_mul_f32_e32 v190, 0x41800000, v190                       // 000000007C90: 0B7D7CFF 41800000
	v_mul_f32_e32 v191, v23, v191                              // 000000007C98: 0B7F7F17
	v_mul_f32_e32 v191, 0x41800000, v191                       // 000000007C9C: 0B7F7EFF 41800000
	v_mul_f32_dpp v188, v12, v188 row_newbcast:4 row_mask:0xf bank_mask:0xf// 000000007CA4: 0B7978FA FF01540C
	v_mul_f32_dpp v189, v12, v189 row_newbcast:5 row_mask:0xf bank_mask:0xf// 000000007CAC: 0B7B7AFA FF01550C
	v_mul_f32_dpp v190, v12, v190 row_newbcast:6 row_mask:0xf bank_mask:0xf// 000000007CB4: 0B7D7CFA FF01560C
	v_mul_f32_dpp v191, v12, v191 row_newbcast:7 row_mask:0xf bank_mask:0xf// 000000007CBC: 0B7F7EFA FF01570C
	v_mul_f32_e32 v188, v18, v188                              // 000000007CC4: 0B797912
	v_mul_f32_e32 v189, v18, v189                              // 000000007CC8: 0B7B7B12
	v_mul_f32_e32 v190, v18, v190                              // 000000007CCC: 0B7D7D12
	v_mul_f32_e32 v191, v18, v191                              // 000000007CD0: 0B7F7F12
	v_mul_f32_e32 v192, v22, v192                              // 000000007CD4: 0B818116
	v_mul_f32_e32 v192, 0x41800000, v192                       // 000000007CD8: 0B8180FF 41800000
	v_mul_f32_e32 v193, v22, v193                              // 000000007CE0: 0B838316
	v_mul_f32_e32 v193, 0x41800000, v193                       // 000000007CE4: 0B8382FF 41800000
	v_mul_f32_e32 v194, v22, v194                              // 000000007CEC: 0B858516
	v_mul_f32_e32 v194, 0x41800000, v194                       // 000000007CF0: 0B8584FF 41800000
	v_mul_f32_e32 v195, v22, v195                              // 000000007CF8: 0B878716
	v_mul_f32_e32 v195, 0x41800000, v195                       // 000000007CFC: 0B8786FF 41800000
	v_mul_f32_dpp v192, v12, v192 row_newbcast:8 row_mask:0xf bank_mask:0xf// 000000007D04: 0B8180FA FF01580C
	v_mul_f32_dpp v193, v12, v193 row_newbcast:9 row_mask:0xf bank_mask:0xf// 000000007D0C: 0B8382FA FF01590C
	v_mul_f32_dpp v194, v12, v194 row_newbcast:10 row_mask:0xf bank_mask:0xf// 000000007D14: 0B8584FA FF015A0C
	v_mul_f32_dpp v195, v12, v195 row_newbcast:11 row_mask:0xf bank_mask:0xf// 000000007D1C: 0B8786FA FF015B0C
	v_mul_f32_e32 v192, v17, v192                              // 000000007D24: 0B818111
	v_mul_f32_e32 v193, v17, v193                              // 000000007D28: 0B838311
	v_mul_f32_e32 v194, v17, v194                              // 000000007D2C: 0B858511
	v_mul_f32_e32 v195, v17, v195                              // 000000007D30: 0B878711
	v_mul_f32_e32 v196, v23, v196                              // 000000007D34: 0B898917
	v_mul_f32_e32 v196, 0x41800000, v196                       // 000000007D38: 0B8988FF 41800000
	v_mul_f32_e32 v197, v23, v197                              // 000000007D40: 0B8B8B17
	v_mul_f32_e32 v197, 0x41800000, v197                       // 000000007D44: 0B8B8AFF 41800000
	v_mul_f32_e32 v198, v23, v198                              // 000000007D4C: 0B8D8D17
	v_mul_f32_e32 v198, 0x41800000, v198                       // 000000007D50: 0B8D8CFF 41800000
	v_mul_f32_e32 v199, v23, v199                              // 000000007D58: 0B8F8F17
	v_mul_f32_e32 v199, 0x41800000, v199                       // 000000007D5C: 0B8F8EFF 41800000
	v_mul_f32_dpp v196, v12, v196 row_newbcast:8 row_mask:0xf bank_mask:0xf// 000000007D64: 0B8988FA FF01580C
	v_mul_f32_dpp v197, v12, v197 row_newbcast:9 row_mask:0xf bank_mask:0xf// 000000007D6C: 0B8B8AFA FF01590C
	v_mul_f32_dpp v198, v12, v198 row_newbcast:10 row_mask:0xf bank_mask:0xf// 000000007D74: 0B8D8CFA FF015A0C
	v_mul_f32_dpp v199, v12, v199 row_newbcast:11 row_mask:0xf bank_mask:0xf// 000000007D7C: 0B8F8EFA FF015B0C
	v_mul_f32_e32 v196, v18, v196                              // 000000007D84: 0B898912
	v_mul_f32_e32 v197, v18, v197                              // 000000007D88: 0B8B8B12
	v_mul_f32_e32 v198, v18, v198                              // 000000007D8C: 0B8D8D12
	v_mul_f32_e32 v199, v18, v199                              // 000000007D90: 0B8F8F12
	v_mul_f32_e32 v200, v22, v200                              // 000000007D94: 0B919116
	v_mul_f32_e32 v200, 0x41800000, v200                       // 000000007D98: 0B9190FF 41800000
	v_mul_f32_e32 v201, v22, v201                              // 000000007DA0: 0B939316
	v_mul_f32_e32 v201, 0x41800000, v201                       // 000000007DA4: 0B9392FF 41800000
	v_mul_f32_e32 v202, v22, v202                              // 000000007DAC: 0B959516
	v_mul_f32_e32 v202, 0x41800000, v202                       // 000000007DB0: 0B9594FF 41800000
	v_mul_f32_e32 v203, v22, v203                              // 000000007DB8: 0B979716
	v_mul_f32_e32 v203, 0x41800000, v203                       // 000000007DBC: 0B9796FF 41800000
	v_mul_f32_dpp v200, v12, v200 row_newbcast:12 row_mask:0xf bank_mask:0xf// 000000007DC4: 0B9190FA FF015C0C
	v_mul_f32_dpp v201, v12, v201 row_newbcast:13 row_mask:0xf bank_mask:0xf// 000000007DCC: 0B9392FA FF015D0C
	v_mul_f32_dpp v202, v12, v202 row_newbcast:14 row_mask:0xf bank_mask:0xf// 000000007DD4: 0B9594FA FF015E0C
	v_mul_f32_dpp v203, v12, v203 row_newbcast:15 row_mask:0xf bank_mask:0xf// 000000007DDC: 0B9796FA FF015F0C
	v_mul_f32_e32 v200, v17, v200                              // 000000007DE4: 0B919111
	v_mul_f32_e32 v201, v17, v201                              // 000000007DE8: 0B939311
	v_mul_f32_e32 v202, v17, v202                              // 000000007DEC: 0B959511
	v_mul_f32_e32 v203, v17, v203                              // 000000007DF0: 0B979711
	v_mul_f32_e32 v204, v23, v204                              // 000000007DF4: 0B999917
	v_mul_f32_e32 v204, 0x41800000, v204                       // 000000007DF8: 0B9998FF 41800000
	v_mul_f32_e32 v205, v23, v205                              // 000000007E00: 0B9B9B17
	v_mul_f32_e32 v205, 0x41800000, v205                       // 000000007E04: 0B9B9AFF 41800000
	v_mul_f32_e32 v206, v23, v206                              // 000000007E0C: 0B9D9D17
	v_mul_f32_e32 v206, 0x41800000, v206                       // 000000007E10: 0B9D9CFF 41800000
	v_mul_f32_e32 v207, v23, v207                              // 000000007E18: 0B9F9F17
	v_mul_f32_e32 v207, 0x41800000, v207                       // 000000007E1C: 0B9F9EFF 41800000
	v_mul_f32_dpp v204, v12, v204 row_newbcast:12 row_mask:0xf bank_mask:0xf// 000000007E24: 0B9998FA FF015C0C
	v_mul_f32_dpp v205, v12, v205 row_newbcast:13 row_mask:0xf bank_mask:0xf// 000000007E2C: 0B9B9AFA FF015D0C
	v_mul_f32_dpp v206, v12, v206 row_newbcast:14 row_mask:0xf bank_mask:0xf// 000000007E34: 0B9D9CFA FF015E0C
	v_mul_f32_dpp v207, v12, v207 row_newbcast:15 row_mask:0xf bank_mask:0xf// 000000007E3C: 0B9F9EFA FF015F0C
	v_mul_f32_e32 v204, v18, v204                              // 000000007E44: 0B999912
	v_mul_f32_e32 v205, v18, v205                              // 000000007E48: 0B9B9B12
	v_mul_f32_e32 v206, v18, v206                              // 000000007E4C: 0B9D9D12
	v_mul_f32_e32 v207, v18, v207                              // 000000007E50: 0B9F9F12
	v_cmp_u_f32_e64 s[48:49], v176, v176                       // 000000007E54: D0480030 000361B0
	v_add3_u32 v38, v176, v41, 1                               // 000000007E5C: D1FF0026 020653B0
	v_cndmask_b32_e64 v44, v38, v40, s[48:49]                  // 000000007E64: D100002C 00C25126
	v_cmp_u_f32_e64 s[48:49], v177, v177                       // 000000007E6C: D0480030 000363B1
	v_add3_u32 v38, v177, v41, 1                               // 000000007E74: D1FF0026 020653B1
	v_cndmask_b32_e64 v45, v38, v40, s[48:49]                  // 000000007E7C: D100002D 00C25126
	v_perm_b32 v176, v45, v44, s52                             // 000000007E84: D1ED00B0 00D2592D
	v_cmp_u_f32_e64 s[48:49], v178, v178                       // 000000007E8C: D0480030 000365B2
	v_add3_u32 v38, v178, v41, 1                               // 000000007E94: D1FF0026 020653B2
	v_cndmask_b32_e64 v44, v38, v40, s[48:49]                  // 000000007E9C: D100002C 00C25126
	v_cmp_u_f32_e64 s[48:49], v179, v179                       // 000000007EA4: D0480030 000367B3
	v_add3_u32 v38, v179, v41, 1                               // 000000007EAC: D1FF0026 020653B3
	v_cndmask_b32_e64 v45, v38, v40, s[48:49]                  // 000000007EB4: D100002D 00C25126
	v_perm_b32 v177, v45, v44, s52                             // 000000007EBC: D1ED00B1 00D2592D
	v_cmp_u_f32_e64 s[48:49], v180, v180                       // 000000007EC4: D0480030 000369B4
	v_add3_u32 v38, v180, v41, 1                               // 000000007ECC: D1FF0026 020653B4
	v_cndmask_b32_e64 v44, v38, v40, s[48:49]                  // 000000007ED4: D100002C 00C25126
	v_cmp_u_f32_e64 s[48:49], v181, v181                       // 000000007EDC: D0480030 00036BB5
	v_add3_u32 v38, v181, v41, 1                               // 000000007EE4: D1FF0026 020653B5
	v_cndmask_b32_e64 v45, v38, v40, s[48:49]                  // 000000007EEC: D100002D 00C25126
	v_perm_b32 v178, v45, v44, s52                             // 000000007EF4: D1ED00B2 00D2592D
	v_cmp_u_f32_e64 s[48:49], v182, v182                       // 000000007EFC: D0480030 00036DB6
	v_add3_u32 v38, v182, v41, 1                               // 000000007F04: D1FF0026 020653B6
	v_cndmask_b32_e64 v44, v38, v40, s[48:49]                  // 000000007F0C: D100002C 00C25126
	v_cmp_u_f32_e64 s[48:49], v183, v183                       // 000000007F14: D0480030 00036FB7
	v_add3_u32 v38, v183, v41, 1                               // 000000007F1C: D1FF0026 020653B7
	v_cndmask_b32_e64 v45, v38, v40, s[48:49]                  // 000000007F24: D100002D 00C25126
	v_perm_b32 v179, v45, v44, s52                             // 000000007F2C: D1ED00B3 00D2592D
	v_cmp_u_f32_e64 s[48:49], v184, v184                       // 000000007F34: D0480030 000371B8
	v_add3_u32 v38, v184, v41, 1                               // 000000007F3C: D1FF0026 020653B8
	v_cndmask_b32_e64 v44, v38, v40, s[48:49]                  // 000000007F44: D100002C 00C25126
	v_cmp_u_f32_e64 s[48:49], v185, v185                       // 000000007F4C: D0480030 000373B9
	v_add3_u32 v38, v185, v41, 1                               // 000000007F54: D1FF0026 020653B9
	v_cndmask_b32_e64 v45, v38, v40, s[48:49]                  // 000000007F5C: D100002D 00C25126
	v_perm_b32 v180, v45, v44, s52                             // 000000007F64: D1ED00B4 00D2592D
	v_cmp_u_f32_e64 s[48:49], v186, v186                       // 000000007F6C: D0480030 000375BA
	v_add3_u32 v38, v186, v41, 1                               // 000000007F74: D1FF0026 020653BA
	v_cndmask_b32_e64 v44, v38, v40, s[48:49]                  // 000000007F7C: D100002C 00C25126
	v_cmp_u_f32_e64 s[48:49], v187, v187                       // 000000007F84: D0480030 000377BB
	v_add3_u32 v38, v187, v41, 1                               // 000000007F8C: D1FF0026 020653BB
	v_cndmask_b32_e64 v45, v38, v40, s[48:49]                  // 000000007F94: D100002D 00C25126
	v_perm_b32 v181, v45, v44, s52                             // 000000007F9C: D1ED00B5 00D2592D
	v_cmp_u_f32_e64 s[48:49], v188, v188                       // 000000007FA4: D0480030 000379BC
	v_add3_u32 v38, v188, v41, 1                               // 000000007FAC: D1FF0026 020653BC
	v_cndmask_b32_e64 v44, v38, v40, s[48:49]                  // 000000007FB4: D100002C 00C25126
	v_cmp_u_f32_e64 s[48:49], v189, v189                       // 000000007FBC: D0480030 00037BBD
	v_add3_u32 v38, v189, v41, 1                               // 000000007FC4: D1FF0026 020653BD
	v_cndmask_b32_e64 v45, v38, v40, s[48:49]                  // 000000007FCC: D100002D 00C25126
	v_perm_b32 v182, v45, v44, s52                             // 000000007FD4: D1ED00B6 00D2592D
	v_cmp_u_f32_e64 s[48:49], v190, v190                       // 000000007FDC: D0480030 00037DBE
	v_add3_u32 v38, v190, v41, 1                               // 000000007FE4: D1FF0026 020653BE
	v_cndmask_b32_e64 v44, v38, v40, s[48:49]                  // 000000007FEC: D100002C 00C25126
	v_cmp_u_f32_e64 s[48:49], v191, v191                       // 000000007FF4: D0480030 00037FBF
	v_add3_u32 v38, v191, v41, 1                               // 000000007FFC: D1FF0026 020653BF
	v_cndmask_b32_e64 v45, v38, v40, s[48:49]                  // 000000008004: D100002D 00C25126
	v_perm_b32 v183, v45, v44, s52                             // 00000000800C: D1ED00B7 00D2592D
	v_cmp_u_f32_e64 s[48:49], v192, v192                       // 000000008014: D0480030 000381C0
	v_add3_u32 v38, v192, v41, 1                               // 00000000801C: D1FF0026 020653C0
	v_cndmask_b32_e64 v44, v38, v40, s[48:49]                  // 000000008024: D100002C 00C25126
	v_cmp_u_f32_e64 s[48:49], v193, v193                       // 00000000802C: D0480030 000383C1
	v_add3_u32 v38, v193, v41, 1                               // 000000008034: D1FF0026 020653C1
	v_cndmask_b32_e64 v45, v38, v40, s[48:49]                  // 00000000803C: D100002D 00C25126
	v_perm_b32 v184, v45, v44, s52                             // 000000008044: D1ED00B8 00D2592D
	v_cmp_u_f32_e64 s[48:49], v194, v194                       // 00000000804C: D0480030 000385C2
	v_add3_u32 v38, v194, v41, 1                               // 000000008054: D1FF0026 020653C2
	v_cndmask_b32_e64 v44, v38, v40, s[48:49]                  // 00000000805C: D100002C 00C25126
	v_cmp_u_f32_e64 s[48:49], v195, v195                       // 000000008064: D0480030 000387C3
	v_add3_u32 v38, v195, v41, 1                               // 00000000806C: D1FF0026 020653C3
	v_cndmask_b32_e64 v45, v38, v40, s[48:49]                  // 000000008074: D100002D 00C25126
	v_perm_b32 v185, v45, v44, s52                             // 00000000807C: D1ED00B9 00D2592D
	v_cmp_u_f32_e64 s[48:49], v196, v196                       // 000000008084: D0480030 000389C4
	v_add3_u32 v38, v196, v41, 1                               // 00000000808C: D1FF0026 020653C4
	v_cndmask_b32_e64 v44, v38, v40, s[48:49]                  // 000000008094: D100002C 00C25126
	v_cmp_u_f32_e64 s[48:49], v197, v197                       // 00000000809C: D0480030 00038BC5
	v_add3_u32 v38, v197, v41, 1                               // 0000000080A4: D1FF0026 020653C5
	v_cndmask_b32_e64 v45, v38, v40, s[48:49]                  // 0000000080AC: D100002D 00C25126
	v_perm_b32 v186, v45, v44, s52                             // 0000000080B4: D1ED00BA 00D2592D
	v_cmp_u_f32_e64 s[48:49], v198, v198                       // 0000000080BC: D0480030 00038DC6
	v_add3_u32 v38, v198, v41, 1                               // 0000000080C4: D1FF0026 020653C6
	v_cndmask_b32_e64 v44, v38, v40, s[48:49]                  // 0000000080CC: D100002C 00C25126
	v_cmp_u_f32_e64 s[48:49], v199, v199                       // 0000000080D4: D0480030 00038FC7
	v_add3_u32 v38, v199, v41, 1                               // 0000000080DC: D1FF0026 020653C7
	v_cndmask_b32_e64 v45, v38, v40, s[48:49]                  // 0000000080E4: D100002D 00C25126
	v_perm_b32 v187, v45, v44, s52                             // 0000000080EC: D1ED00BB 00D2592D
	v_cmp_u_f32_e64 s[48:49], v200, v200                       // 0000000080F4: D0480030 000391C8
	v_add3_u32 v38, v200, v41, 1                               // 0000000080FC: D1FF0026 020653C8
	v_cndmask_b32_e64 v44, v38, v40, s[48:49]                  // 000000008104: D100002C 00C25126
	v_cmp_u_f32_e64 s[48:49], v201, v201                       // 00000000810C: D0480030 000393C9
	v_add3_u32 v38, v201, v41, 1                               // 000000008114: D1FF0026 020653C9
	v_cndmask_b32_e64 v45, v38, v40, s[48:49]                  // 00000000811C: D100002D 00C25126
	v_perm_b32 v188, v45, v44, s52                             // 000000008124: D1ED00BC 00D2592D
	v_cmp_u_f32_e64 s[48:49], v202, v202                       // 00000000812C: D0480030 000395CA
	v_add3_u32 v38, v202, v41, 1                               // 000000008134: D1FF0026 020653CA
	v_cndmask_b32_e64 v44, v38, v40, s[48:49]                  // 00000000813C: D100002C 00C25126
	v_cmp_u_f32_e64 s[48:49], v203, v203                       // 000000008144: D0480030 000397CB
	v_add3_u32 v38, v203, v41, 1                               // 00000000814C: D1FF0026 020653CB
	v_cndmask_b32_e64 v45, v38, v40, s[48:49]                  // 000000008154: D100002D 00C25126
	v_perm_b32 v189, v45, v44, s52                             // 00000000815C: D1ED00BD 00D2592D
	v_cmp_u_f32_e64 s[48:49], v204, v204                       // 000000008164: D0480030 000399CC
	v_add3_u32 v38, v204, v41, 1                               // 00000000816C: D1FF0026 020653CC
	v_cndmask_b32_e64 v44, v38, v40, s[48:49]                  // 000000008174: D100002C 00C25126
	v_cmp_u_f32_e64 s[48:49], v205, v205                       // 00000000817C: D0480030 00039BCD
	v_add3_u32 v38, v205, v41, 1                               // 000000008184: D1FF0026 020653CD
	v_cndmask_b32_e64 v45, v38, v40, s[48:49]                  // 00000000818C: D100002D 00C25126
	v_perm_b32 v190, v45, v44, s52                             // 000000008194: D1ED00BE 00D2592D
	v_cmp_u_f32_e64 s[48:49], v206, v206                       // 00000000819C: D0480030 00039DCE
	v_add3_u32 v38, v206, v41, 1                               // 0000000081A4: D1FF0026 020653CE
	v_cndmask_b32_e64 v44, v38, v40, s[48:49]                  // 0000000081AC: D100002C 00C25126
	v_cmp_u_f32_e64 s[48:49], v207, v207                       // 0000000081B4: D0480030 00039FCF
	v_add3_u32 v38, v207, v41, 1                               // 0000000081BC: D1FF0026 020653CF
	v_cndmask_b32_e64 v45, v38, v40, s[48:49]                  // 0000000081C4: D100002D 00C25126
	v_perm_b32 v191, v45, v44, s52                             // 0000000081CC: D1ED00BF 00D2592D
	ds_write_b64 v3, v[176:177] offset:22784                   // 0000000081D4: D89A5900 0000B003
	ds_write_b64 v3, v[178:179] offset:31488                   // 0000000081DC: D89A7B00 0000B203
	ds_write_b64 v3, v[180:181] offset:24960                   // 0000000081E4: D89A6180 0000B403
	ds_write_b64 v3, v[182:183] offset:33664                   // 0000000081EC: D89A8380 0000B603
	ds_write_b64 v3, v[184:185] offset:27136                   // 0000000081F4: D89A6A00 0000B803
	ds_write_b64 v3, v[186:187] offset:35840                   // 0000000081FC: D89A8C00 0000BA03
	ds_write_b64 v3, v[188:189] offset:29312                   // 000000008204: D89A7280 0000BC03
	ds_write_b64 v3, v[190:191] offset:38016                   // 00000000820C: D89A9480 0000BE03
	s_waitcnt lgkmcnt(0)                                       // 000000008214: BF8CC07F
	s_barrier                                                  // 000000008218: BF8A0000
	ds_read_b32 v64, v4 offset:22784                           // 00000000821C: D86C5900 40000004
	ds_read_b32 v65, v4 offset:27136                           // 000000008224: D86C6A00 41000004
	ds_read_b32 v66, v4 offset:22816                           // 00000000822C: D86C5920 42000004
	ds_read_b32 v67, v4 offset:27168                           // 000000008234: D86C6A20 43000004
	ds_read_b32 v68, v4 offset:22848                           // 00000000823C: D86C5940 44000004
	ds_read_b32 v69, v4 offset:27200                           // 000000008244: D86C6A40 45000004
	ds_read_b32 v70, v4 offset:22880                           // 00000000824C: D86C5960 46000004
	ds_read_b32 v71, v4 offset:27232                           // 000000008254: D86C6A60 47000004
	ds_read_b32 v72, v4 offset:31488                           // 00000000825C: D86C7B00 48000004
	ds_read_b32 v73, v4 offset:35840                           // 000000008264: D86C8C00 49000004
	ds_read_b32 v74, v4 offset:31520                           // 00000000826C: D86C7B20 4A000004
	ds_read_b32 v75, v4 offset:35872                           // 000000008274: D86C8C20 4B000004
	ds_read_b32 v76, v4 offset:31552                           // 00000000827C: D86C7B40 4C000004
	ds_read_b32 v77, v4 offset:35904                           // 000000008284: D86C8C40 4D000004
	ds_read_b32 v78, v4 offset:31584                           // 00000000828C: D86C7B60 4E000004
	ds_read_b32 v79, v4 offset:35936                           // 000000008294: D86C8C60 4F000004
	s_waitcnt lgkmcnt(0)                                       // 00000000829C: BF8CC07F
	s_mov_b64 exec, s[20:21]                                   // 0000000082A0: BEFE0114
	global_atomic_pk_add_bf16 v80, v64, s[8:9]                 // 0000000082A4: DD488000 00084050
	s_mov_b64 exec, s[36:37]                                   // 0000000082AC: BEFE0124
	s_mov_b64 exec, s[20:21]                                   // 0000000082B0: BEFE0114
	global_atomic_pk_add_bf16 v80, v65, s[8:9] offset:256      // 0000000082B4: DD488100 00084150
	s_mov_b64 exec, s[36:37]                                   // 0000000082BC: BEFE0124
	s_mov_b64 exec, s[22:23]                                   // 0000000082C0: BEFE0116
	global_atomic_pk_add_bf16 v82, v66, s[8:9]                 // 0000000082C4: DD488000 00084252
	s_mov_b64 exec, s[36:37]                                   // 0000000082CC: BEFE0124
	s_mov_b64 exec, s[22:23]                                   // 0000000082D0: BEFE0116
	global_atomic_pk_add_bf16 v82, v67, s[8:9] offset:256      // 0000000082D4: DD488100 00084352
	s_mov_b64 exec, s[36:37]                                   // 0000000082DC: BEFE0124
	s_mov_b64 exec, s[24:25]                                   // 0000000082E0: BEFE0118
	global_atomic_pk_add_bf16 v84, v68, s[8:9]                 // 0000000082E4: DD488000 00084454
	s_mov_b64 exec, s[36:37]                                   // 0000000082EC: BEFE0124
	s_mov_b64 exec, s[24:25]                                   // 0000000082F0: BEFE0118
	global_atomic_pk_add_bf16 v84, v69, s[8:9] offset:256      // 0000000082F4: DD488100 00084554
	s_mov_b64 exec, s[36:37]                                   // 0000000082FC: BEFE0124
	s_mov_b64 exec, s[26:27]                                   // 000000008300: BEFE011A
	global_atomic_pk_add_bf16 v86, v70, s[8:9]                 // 000000008304: DD488000 00084656
	s_mov_b64 exec, s[36:37]                                   // 00000000830C: BEFE0124
	s_mov_b64 exec, s[26:27]                                   // 000000008310: BEFE011A
	global_atomic_pk_add_bf16 v86, v71, s[8:9] offset:256      // 000000008314: DD488100 00084756
	s_mov_b64 exec, s[36:37]                                   // 00000000831C: BEFE0124
	s_mov_b64 exec, s[28:29]                                   // 000000008320: BEFE011C
	global_atomic_pk_add_bf16 v88, v72, s[8:9]                 // 000000008324: DD488000 00084858
	s_mov_b64 exec, s[36:37]                                   // 00000000832C: BEFE0124
	s_mov_b64 exec, s[28:29]                                   // 000000008330: BEFE011C
	global_atomic_pk_add_bf16 v88, v73, s[8:9] offset:256      // 000000008334: DD488100 00084958
	s_mov_b64 exec, s[36:37]                                   // 00000000833C: BEFE0124
	s_mov_b64 exec, s[30:31]                                   // 000000008340: BEFE011E
	global_atomic_pk_add_bf16 v90, v74, s[8:9]                 // 000000008344: DD488000 00084A5A
	s_mov_b64 exec, s[36:37]                                   // 00000000834C: BEFE0124
	s_mov_b64 exec, s[30:31]                                   // 000000008350: BEFE011E
	global_atomic_pk_add_bf16 v90, v75, s[8:9] offset:256      // 000000008354: DD488100 00084B5A
	s_mov_b64 exec, s[36:37]                                   // 00000000835C: BEFE0124
	s_mov_b64 exec, s[32:33]                                   // 000000008360: BEFE0120
	global_atomic_pk_add_bf16 v92, v76, s[8:9]                 // 000000008364: DD488000 00084C5C
	s_mov_b64 exec, s[36:37]                                   // 00000000836C: BEFE0124
	s_mov_b64 exec, s[32:33]                                   // 000000008370: BEFE0120
	global_atomic_pk_add_bf16 v92, v77, s[8:9] offset:256      // 000000008374: DD488100 00084D5C
	s_mov_b64 exec, s[36:37]                                   // 00000000837C: BEFE0124
	s_mov_b64 exec, s[34:35]                                   // 000000008380: BEFE0122
	global_atomic_pk_add_bf16 v94, v78, s[8:9]                 // 000000008384: DD488000 00084E5E
	s_mov_b64 exec, s[36:37]                                   // 00000000838C: BEFE0124
	s_mov_b64 exec, s[34:35]                                   // 000000008390: BEFE0122
	global_atomic_pk_add_bf16 v94, v79, s[8:9] offset:256      // 000000008394: DD488100 00084F5E
	s_mov_b64 exec, s[36:37]                                   // 00000000839C: BEFE0124
	s_add_u32 s8, s59, s8                                      // 0000000083A0: 8008083B
	s_addc_u32 s9, 0, s9                                       // 0000000083A4: 82090980
	s_addk_i32 s80, 0x100                                      // 0000000083A8: B7500100
	s_cmp_lt_i32 s80, s81                                      // 0000000083AC: BF045150
	s_cbranch_scc0 label_162E                                  // 0000000083B0: BF840001
	s_branch label_0D8F                                        // 0000000083B4: BF82F761

00000000000083b8 <label_162E>:
	s_nop 0                                                    // 0000000083B8: BF800000
	s_nop 0                                                    // 0000000083BC: BF800000
	s_branch label_1631                                        // 0000000083C0: BF820000

00000000000083c4 <label_1631>:
	s_waitcnt vmcnt(0) expcnt(0) lgkmcnt(0)                    // 0000000083C4: BF8C0000
	s_endpgm                                                   // 0000000083C8: BF810000
